;; amdgpu-corpus repo=ROCm/rocFFT kind=compiled arch=gfx950 opt=O3
	.text
	.amdgcn_target "amdgcn-amd-amdhsa--gfx950"
	.amdhsa_code_object_version 6
	.protected	fft_rtc_back_len864_factors_3_6_16_3_wgs_54_tpt_54_halfLds_sp_ip_CI_unitstride_sbrr_R2C_dirReg ; -- Begin function fft_rtc_back_len864_factors_3_6_16_3_wgs_54_tpt_54_halfLds_sp_ip_CI_unitstride_sbrr_R2C_dirReg
	.globl	fft_rtc_back_len864_factors_3_6_16_3_wgs_54_tpt_54_halfLds_sp_ip_CI_unitstride_sbrr_R2C_dirReg
	.p2align	8
	.type	fft_rtc_back_len864_factors_3_6_16_3_wgs_54_tpt_54_halfLds_sp_ip_CI_unitstride_sbrr_R2C_dirReg,@function
fft_rtc_back_len864_factors_3_6_16_3_wgs_54_tpt_54_halfLds_sp_ip_CI_unitstride_sbrr_R2C_dirReg: ; @fft_rtc_back_len864_factors_3_6_16_3_wgs_54_tpt_54_halfLds_sp_ip_CI_unitstride_sbrr_R2C_dirReg
; %bb.0:
	s_load_dwordx2 s[4:5], s[0:1], 0x50
	s_load_dwordx4 s[8:11], s[0:1], 0x0
	s_load_dwordx2 s[6:7], s[0:1], 0x18
	v_mul_u32_u24_e32 v1, 0x4be, v0
	v_add_u32_sdwa v6, s2, v1 dst_sel:DWORD dst_unused:UNUSED_PAD src0_sel:DWORD src1_sel:WORD_1
	v_mov_b32_e32 v4, 0
	s_waitcnt lgkmcnt(0)
	v_cmp_lt_u64_e64 s[2:3], s[10:11], 2
	v_mov_b32_e32 v7, v4
	s_and_b64 vcc, exec, s[2:3]
	v_mov_b64_e32 v[2:3], 0
	s_cbranch_vccnz .LBB0_8
; %bb.1:
	s_load_dwordx2 s[2:3], s[0:1], 0x10
	s_add_u32 s12, s6, 8
	s_addc_u32 s13, s7, 0
	s_mov_b64 s[14:15], 1
	v_mov_b64_e32 v[2:3], 0
	s_waitcnt lgkmcnt(0)
	s_add_u32 s16, s2, 8
	s_addc_u32 s17, s3, 0
.LBB0_2:                                ; =>This Inner Loop Header: Depth=1
	s_load_dwordx2 s[18:19], s[16:17], 0x0
                                        ; implicit-def: $vgpr8_vgpr9
	s_waitcnt lgkmcnt(0)
	v_or_b32_e32 v5, s19, v7
	v_cmp_ne_u64_e32 vcc, 0, v[4:5]
	s_and_saveexec_b64 s[2:3], vcc
	s_xor_b64 s[20:21], exec, s[2:3]
	s_cbranch_execz .LBB0_4
; %bb.3:                                ;   in Loop: Header=BB0_2 Depth=1
	v_cvt_f32_u32_e32 v1, s18
	v_cvt_f32_u32_e32 v5, s19
	s_sub_u32 s2, 0, s18
	s_subb_u32 s3, 0, s19
	v_fmac_f32_e32 v1, 0x4f800000, v5
	v_rcp_f32_e32 v1, v1
	s_nop 0
	v_mul_f32_e32 v1, 0x5f7ffffc, v1
	v_mul_f32_e32 v5, 0x2f800000, v1
	v_trunc_f32_e32 v5, v5
	v_fmac_f32_e32 v1, 0xcf800000, v5
	v_cvt_u32_f32_e32 v5, v5
	v_cvt_u32_f32_e32 v1, v1
	v_mul_lo_u32 v8, s2, v5
	v_mul_hi_u32 v10, s2, v1
	v_mul_lo_u32 v9, s3, v1
	v_add_u32_e32 v10, v10, v8
	v_mul_lo_u32 v12, s2, v1
	v_add_u32_e32 v13, v10, v9
	v_mul_hi_u32 v8, v1, v12
	v_mul_hi_u32 v11, v1, v13
	v_mul_lo_u32 v10, v1, v13
	v_mov_b32_e32 v9, v4
	v_lshl_add_u64 v[8:9], v[8:9], 0, v[10:11]
	v_mul_hi_u32 v11, v5, v12
	v_mul_lo_u32 v12, v5, v12
	v_add_co_u32_e32 v8, vcc, v8, v12
	v_mul_hi_u32 v10, v5, v13
	s_nop 0
	v_addc_co_u32_e32 v8, vcc, v9, v11, vcc
	v_mov_b32_e32 v9, v4
	s_nop 0
	v_addc_co_u32_e32 v11, vcc, 0, v10, vcc
	v_mul_lo_u32 v10, v5, v13
	v_lshl_add_u64 v[8:9], v[8:9], 0, v[10:11]
	v_add_co_u32_e32 v1, vcc, v1, v8
	v_mul_lo_u32 v10, s2, v1
	s_nop 0
	v_addc_co_u32_e32 v5, vcc, v5, v9, vcc
	v_mul_lo_u32 v8, s2, v5
	v_mul_hi_u32 v9, s2, v1
	v_add_u32_e32 v8, v9, v8
	v_mul_lo_u32 v9, s3, v1
	v_add_u32_e32 v12, v8, v9
	v_mul_hi_u32 v14, v5, v10
	v_mul_lo_u32 v15, v5, v10
	v_mul_hi_u32 v9, v1, v12
	v_mul_lo_u32 v8, v1, v12
	v_mul_hi_u32 v10, v1, v10
	v_mov_b32_e32 v11, v4
	v_lshl_add_u64 v[8:9], v[10:11], 0, v[8:9]
	v_add_co_u32_e32 v8, vcc, v8, v15
	v_mul_hi_u32 v13, v5, v12
	s_nop 0
	v_addc_co_u32_e32 v8, vcc, v9, v14, vcc
	v_mul_lo_u32 v10, v5, v12
	s_nop 0
	v_addc_co_u32_e32 v11, vcc, 0, v13, vcc
	v_mov_b32_e32 v9, v4
	v_lshl_add_u64 v[8:9], v[8:9], 0, v[10:11]
	v_add_co_u32_e32 v1, vcc, v1, v8
	v_mul_hi_u32 v10, v6, v1
	s_nop 0
	v_addc_co_u32_e32 v5, vcc, v5, v9, vcc
	v_mad_u64_u32 v[8:9], s[2:3], v6, v5, 0
	v_mov_b32_e32 v11, v4
	v_lshl_add_u64 v[8:9], v[10:11], 0, v[8:9]
	v_mad_u64_u32 v[12:13], s[2:3], v7, v1, 0
	v_add_co_u32_e32 v1, vcc, v8, v12
	v_mad_u64_u32 v[10:11], s[2:3], v7, v5, 0
	s_nop 0
	v_addc_co_u32_e32 v8, vcc, v9, v13, vcc
	v_mov_b32_e32 v9, v4
	s_nop 0
	v_addc_co_u32_e32 v11, vcc, 0, v11, vcc
	v_lshl_add_u64 v[8:9], v[8:9], 0, v[10:11]
	v_mul_lo_u32 v1, s19, v8
	v_mul_lo_u32 v5, s18, v9
	v_mad_u64_u32 v[10:11], s[2:3], s18, v8, 0
	v_add3_u32 v1, v11, v5, v1
	v_sub_u32_e32 v5, v7, v1
	v_mov_b32_e32 v11, s19
	v_sub_co_u32_e32 v14, vcc, v6, v10
	v_lshl_add_u64 v[12:13], v[8:9], 0, 1
	s_nop 0
	v_subb_co_u32_e64 v5, s[2:3], v5, v11, vcc
	v_subrev_co_u32_e64 v10, s[2:3], s18, v14
	v_subb_co_u32_e32 v1, vcc, v7, v1, vcc
	s_nop 0
	v_subbrev_co_u32_e64 v5, s[2:3], 0, v5, s[2:3]
	v_cmp_le_u32_e64 s[2:3], s19, v5
	v_cmp_le_u32_e32 vcc, s19, v1
	s_nop 0
	v_cndmask_b32_e64 v11, 0, -1, s[2:3]
	v_cmp_le_u32_e64 s[2:3], s18, v10
	s_nop 1
	v_cndmask_b32_e64 v10, 0, -1, s[2:3]
	v_cmp_eq_u32_e64 s[2:3], s19, v5
	s_nop 1
	v_cndmask_b32_e64 v5, v11, v10, s[2:3]
	v_lshl_add_u64 v[10:11], v[8:9], 0, 2
	v_cmp_ne_u32_e64 s[2:3], 0, v5
	s_nop 1
	v_cndmask_b32_e64 v5, v13, v11, s[2:3]
	v_cndmask_b32_e64 v11, 0, -1, vcc
	v_cmp_le_u32_e32 vcc, s18, v14
	s_nop 1
	v_cndmask_b32_e64 v13, 0, -1, vcc
	v_cmp_eq_u32_e32 vcc, s19, v1
	s_nop 1
	v_cndmask_b32_e32 v1, v11, v13, vcc
	v_cmp_ne_u32_e32 vcc, 0, v1
	v_cndmask_b32_e64 v1, v12, v10, s[2:3]
	s_nop 0
	v_cndmask_b32_e32 v9, v9, v5, vcc
	v_cndmask_b32_e32 v8, v8, v1, vcc
.LBB0_4:                                ;   in Loop: Header=BB0_2 Depth=1
	s_andn2_saveexec_b64 s[2:3], s[20:21]
	s_cbranch_execz .LBB0_6
; %bb.5:                                ;   in Loop: Header=BB0_2 Depth=1
	v_cvt_f32_u32_e32 v1, s18
	s_sub_i32 s20, 0, s18
	v_rcp_iflag_f32_e32 v1, v1
	s_nop 0
	v_mul_f32_e32 v1, 0x4f7ffffe, v1
	v_cvt_u32_f32_e32 v1, v1
	v_mul_lo_u32 v5, s20, v1
	v_mul_hi_u32 v5, v1, v5
	v_add_u32_e32 v1, v1, v5
	v_mul_hi_u32 v1, v6, v1
	v_mul_lo_u32 v5, v1, s18
	v_sub_u32_e32 v5, v6, v5
	v_add_u32_e32 v8, 1, v1
	v_subrev_u32_e32 v9, s18, v5
	v_cmp_le_u32_e32 vcc, s18, v5
	s_nop 1
	v_cndmask_b32_e32 v5, v5, v9, vcc
	v_cndmask_b32_e32 v1, v1, v8, vcc
	v_add_u32_e32 v8, 1, v1
	v_cmp_le_u32_e32 vcc, s18, v5
	v_mov_b32_e32 v9, v4
	s_nop 0
	v_cndmask_b32_e32 v8, v1, v8, vcc
.LBB0_6:                                ;   in Loop: Header=BB0_2 Depth=1
	s_or_b64 exec, exec, s[2:3]
	v_mad_u64_u32 v[10:11], s[2:3], v8, s18, 0
	s_load_dwordx2 s[2:3], s[12:13], 0x0
	v_mul_lo_u32 v1, v9, s18
	v_mul_lo_u32 v5, v8, s19
	v_add3_u32 v1, v11, v5, v1
	v_sub_co_u32_e32 v5, vcc, v6, v10
	s_add_u32 s14, s14, 1
	s_nop 0
	v_subb_co_u32_e32 v1, vcc, v7, v1, vcc
	s_addc_u32 s15, s15, 0
	s_waitcnt lgkmcnt(0)
	v_mul_lo_u32 v1, s2, v1
	v_mul_lo_u32 v6, s3, v5
	v_mad_u64_u32 v[2:3], s[2:3], s2, v5, v[2:3]
	s_add_u32 s12, s12, 8
	v_add3_u32 v3, v6, v3, v1
	s_addc_u32 s13, s13, 0
	v_mov_b64_e32 v[6:7], s[10:11]
	s_add_u32 s16, s16, 8
	v_cmp_ge_u64_e32 vcc, s[14:15], v[6:7]
	s_addc_u32 s17, s17, 0
	s_cbranch_vccnz .LBB0_9
; %bb.7:                                ;   in Loop: Header=BB0_2 Depth=1
	v_mov_b64_e32 v[6:7], v[8:9]
	s_branch .LBB0_2
.LBB0_8:
	v_mov_b64_e32 v[8:9], v[6:7]
.LBB0_9:
	s_lshl_b64 s[2:3], s[10:11], 3
	s_add_u32 s2, s6, s2
	s_addc_u32 s3, s7, s3
	s_load_dwordx2 s[6:7], s[2:3], 0x0
	s_load_dwordx2 s[10:11], s[0:1], 0x20
	s_mov_b32 s2, 0x4bda130
                                        ; implicit-def: $vgpr36
                                        ; implicit-def: $vgpr34
                                        ; implicit-def: $vgpr32
                                        ; implicit-def: $vgpr30
	s_waitcnt lgkmcnt(0)
	v_mul_lo_u32 v1, s6, v9
	v_mul_lo_u32 v4, s7, v8
	v_mad_u64_u32 v[2:3], s[0:1], s6, v8, v[2:3]
	v_add3_u32 v3, v4, v3, v1
	v_mul_hi_u32 v1, v0, s2
	v_mul_u32_u24_e32 v1, 54, v1
	v_sub_u32_e32 v24, v0, v1
	v_cmp_gt_u64_e64 s[0:1], s[10:11], v[8:9]
	v_cmp_le_u64_e32 vcc, s[10:11], v[8:9]
	v_add_u32_e32 v28, 54, v24
	s_and_saveexec_b64 s[2:3], vcc
	s_xor_b64 s[2:3], exec, s[2:3]
; %bb.10:
	v_add_u32_e32 v28, 54, v24
	v_add_u32_e32 v36, 0x6c, v24
	;; [unrolled: 1-line block ×5, first 2 shown]
; %bb.11:
	s_or_saveexec_b64 s[2:3], s[2:3]
	v_lshl_add_u64 v[26:27], v[2:3], 3, s[4:5]
	v_lshl_add_u32 v60, v24, 3, 0
	s_xor_b64 exec, exec, s[2:3]
	s_cbranch_execz .LBB0_13
; %bb.12:
	v_mov_b32_e32 v25, 0
	v_lshl_add_u64 v[0:1], v[24:25], 3, v[26:27]
	s_movk_i32 s4, 0x1000
	v_add_co_u32_e32 v18, vcc, s4, v0
	global_load_dwordx2 v[2:3], v[0:1], off
	global_load_dwordx2 v[4:5], v[0:1], off offset:432
	global_load_dwordx2 v[6:7], v[0:1], off offset:864
	;; [unrolled: 1-line block ×7, first 2 shown]
	v_addc_co_u32_e32 v19, vcc, 0, v1, vcc
	global_load_dwordx2 v[20:21], v[0:1], off offset:3456
	global_load_dwordx2 v[22:23], v[0:1], off offset:3888
	;; [unrolled: 1-line block ×8, first 2 shown]
	v_add_u32_e32 v36, 0x6c, v24
	v_add_u32_e32 v34, 0xa2, v24
	;; [unrolled: 1-line block ×8, first 2 shown]
	s_waitcnt vmcnt(14)
	ds_write2_b64 v60, v[2:3], v[4:5] offset1:54
	s_waitcnt vmcnt(12)
	ds_write2_b64 v60, v[6:7], v[8:9] offset0:108 offset1:162
	s_waitcnt vmcnt(10)
	ds_write2_b64 v0, v[10:11], v[12:13] offset0:88 offset1:142
	;; [unrolled: 2-line block ×7, first 2 shown]
.LBB0_13:
	s_or_b64 exec, exec, s[2:3]
	v_add_u32_e32 v5, 0x400, v60
	v_add_u32_e32 v4, 0xc00, v60
	s_waitcnt lgkmcnt(0)
	; wave barrier
	s_waitcnt lgkmcnt(0)
	ds_read2_b64 v[0:3], v5 offset0:88 offset1:142
	ds_read2_b64 v[6:9], v4 offset0:120 offset1:174
	v_add_u32_e32 v10, 0x1800, v60
	ds_read2_b64 v[10:13], v10 offset0:24 offset1:78
	s_mov_b32 s2, 0x3f5db3d7
	v_add_u32_e32 v20, 0x1000, v60
	s_waitcnt lgkmcnt(1)
	v_pk_add_f32 v[14:15], v[0:1], v[6:7]
	v_mad_i32_i24 v25, v28, 24, 0
	s_waitcnt lgkmcnt(0)
	v_pk_add_f32 v[38:39], v[14:15], v[10:11]
	v_pk_add_f32 v[14:15], v[6:7], v[10:11]
	v_pk_add_f32 v[6:7], v[6:7], v[10:11] neg_lo:[0,1] neg_hi:[0,1]
	v_pk_fma_f32 v[0:1], v[14:15], 0.5, v[0:1] op_sel_hi:[1,0,1] neg_lo:[1,0,0] neg_hi:[1,0,0]
	v_mad_i32_i24 v31, v36, 24, 0
	v_pk_fma_f32 v[50:51], v[6:7], s[2:3], v[0:1] op_sel:[0,0,1] op_sel_hi:[1,0,0]
	v_pk_fma_f32 v[48:49], v[6:7], s[2:3], v[0:1] op_sel:[0,0,1] op_sel_hi:[1,0,0] neg_lo:[1,0,0] neg_hi:[1,0,0]
	v_pk_add_f32 v[0:1], v[8:9], v[12:13]
	v_cmp_gt_u32_e32 vcc, 18, v24
	v_pk_fma_f32 v[10:11], v[0:1], 0.5, v[2:3] op_sel_hi:[1,0,1] neg_lo:[1,0,0] neg_hi:[1,0,0]
	v_pk_add_f32 v[0:1], v[8:9], v[12:13] neg_lo:[0,1] neg_hi:[0,1]
	s_nop 0
	v_pk_mul_f32 v[18:19], v[0:1], s[2:3] op_sel_hi:[1,0]
	v_pk_add_f32 v[0:1], v[2:3], v[8:9]
	v_pk_add_f32 v[42:43], v[10:11], v[18:19] op_sel:[0,1] op_sel_hi:[1,0]
	v_pk_add_f32 v[54:55], v[0:1], v[12:13]
	v_add_u32_e32 v12, 0x800, v60
	ds_read2_b64 v[0:3], v60 offset1:54
	ds_read2_b64 v[6:9], v12 offset0:32 offset1:86
	ds_read2_b64 v[14:17], v20 offset0:64 offset1:118
	;; [unrolled: 1-line block ×5, first 2 shown]
	s_waitcnt lgkmcnt(4)
	v_pk_add_f32 v[22:23], v[0:1], v[6:7]
	s_waitcnt lgkmcnt(3)
	v_pk_add_f32 v[40:41], v[6:7], v[14:15]
	v_pk_add_f32 v[6:7], v[6:7], v[14:15] neg_lo:[0,1] neg_hi:[0,1]
	v_pk_fma_f32 v[0:1], v[40:41], 0.5, v[0:1] op_sel_hi:[1,0,1] neg_lo:[1,0,0] neg_hi:[1,0,0]
	v_pk_mul_f32 v[6:7], v[6:7], s[2:3] op_sel_hi:[1,0]
	v_pk_add_f32 v[22:23], v[22:23], v[14:15]
	v_pk_add_f32 v[14:15], v[0:1], v[6:7] op_sel:[0,1] op_sel_hi:[1,0] neg_lo:[0,1] neg_hi:[0,1]
	v_pk_add_f32 v[0:1], v[0:1], v[6:7] op_sel:[0,1] op_sel_hi:[1,0]
	v_lshl_add_u32 v13, v24, 4, v60
	v_mov_b32_e32 v6, v14
	v_mov_b32_e32 v7, v1
	s_waitcnt lgkmcnt(0)
	; wave barrier
	s_waitcnt lgkmcnt(0)
	ds_write2_b64 v13, v[22:23], v[6:7] offset1:1
	v_pk_add_f32 v[6:7], v[10:11], v[18:19] op_sel:[0,1] op_sel_hi:[1,0] neg_lo:[0,1] neg_hi:[0,1]
	v_pk_add_f32 v[10:11], v[8:9], v[16:17]
	v_mov_b32_e32 v1, v15
	v_pk_fma_f32 v[10:11], v[10:11], 0.5, v[2:3] op_sel_hi:[1,0,1] neg_lo:[1,0,0] neg_hi:[1,0,0]
	v_pk_add_f32 v[2:3], v[2:3], v[8:9]
	v_pk_add_f32 v[8:9], v[8:9], v[16:17] neg_lo:[0,1] neg_hi:[0,1]
	v_pk_add_f32 v[2:3], v[2:3], v[16:17]
	v_pk_mul_f32 v[8:9], v[8:9], s[2:3] op_sel_hi:[1,0]
	ds_write_b64 v13, v[0:1] offset:16
	v_pk_add_f32 v[16:17], v[10:11], v[8:9] op_sel:[0,1] op_sel_hi:[1,0] neg_lo:[0,1] neg_hi:[0,1]
	v_pk_add_f32 v[8:9], v[10:11], v[8:9] op_sel:[0,1] op_sel_hi:[1,0]
	v_mov_b32_e32 v10, v16
	v_mov_b32_e32 v11, v9
	;; [unrolled: 1-line block ×3, first 2 shown]
	ds_write2_b64 v25, v[2:3], v[10:11] offset1:1
	ds_write_b64 v25, v[8:9] offset:16
	v_pk_add_f32 v[2:3], v[56:57], v[62:63]
	v_pk_add_f32 v[8:9], v[56:57], v[62:63] neg_lo:[0,1] neg_hi:[0,1]
	v_pk_fma_f32 v[2:3], v[2:3], 0.5, v[44:45] op_sel_hi:[1,0,1] neg_lo:[1,0,0] neg_hi:[1,0,0]
	v_pk_mul_f32 v[8:9], v[8:9], s[2:3] op_sel_hi:[1,0]
	v_pk_add_f32 v[14:15], v[44:45], v[56:57]
	v_pk_add_f32 v[10:11], v[2:3], v[8:9] op_sel:[0,1] op_sel_hi:[1,0] neg_lo:[0,1] neg_hi:[0,1]
	v_pk_add_f32 v[2:3], v[2:3], v[8:9] op_sel:[0,1] op_sel_hi:[1,0]
	v_pk_add_f32 v[14:15], v[14:15], v[62:63]
	v_mov_b32_e32 v8, v10
	v_mov_b32_e32 v9, v3
	;; [unrolled: 1-line block ×3, first 2 shown]
	ds_write2_b64 v31, v[14:15], v[8:9] offset1:1
	ds_write_b64 v31, v[2:3] offset:16
	v_pk_add_f32 v[2:3], v[58:59], v[64:65]
	v_pk_add_f32 v[8:9], v[58:59], v[64:65] neg_lo:[0,1] neg_hi:[0,1]
	v_pk_fma_f32 v[2:3], v[2:3], 0.5, v[46:47] op_sel_hi:[1,0,1] neg_lo:[1,0,0] neg_hi:[1,0,0]
	v_pk_mul_f32 v[8:9], v[8:9], s[2:3] op_sel_hi:[1,0]
	v_pk_add_f32 v[0:1], v[46:47], v[58:59]
	v_pk_add_f32 v[10:11], v[2:3], v[8:9] op_sel:[0,1] op_sel_hi:[1,0] neg_lo:[0,1] neg_hi:[0,1]
	v_pk_add_f32 v[2:3], v[2:3], v[8:9] op_sel:[0,1] op_sel_hi:[1,0]
	v_mad_i32_i24 v18, v34, 24, 0
	v_pk_add_f32 v[0:1], v[0:1], v[64:65]
	v_mov_b32_e32 v8, v10
	v_mov_b32_e32 v9, v3
	;; [unrolled: 1-line block ×3, first 2 shown]
	ds_write2_b64 v18, v[0:1], v[8:9] offset1:1
	ds_write_b64 v18, v[2:3] offset:16
	v_mad_i32_i24 v2, v32, 24, 0
	v_mov_b32_e32 v0, v49
	v_mov_b32_e32 v1, v50
	ds_write2_b64 v2, v[38:39], v[0:1] offset1:1
	v_mov_b32_e32 v0, v51
	v_mov_b32_e32 v1, v48
	ds_write_b64 v2, v[0:1] offset:16
	s_and_saveexec_b64 s[2:3], vcc
	s_cbranch_execz .LBB0_15
; %bb.14:
	v_mad_i32_i24 v2, v30, 24, 0
	v_mov_b32_e32 v0, v6
	v_mov_b32_e32 v1, v43
	ds_write2_b64 v2, v[54:55], v[0:1] offset1:1
	v_mov_b32_e32 v0, v42
	v_mov_b32_e32 v1, v7
	ds_write_b64 v2, v[0:1] offset:16
.LBB0_15:
	s_or_b64 exec, exec, s[2:3]
	s_waitcnt lgkmcnt(0)
	; wave barrier
	s_waitcnt lgkmcnt(0)
	ds_read2_b64 v[0:3], v60 offset1:144
	ds_read2_b64 v[8:11], v5 offset0:70 offset1:160
	ds_read2_b64 v[12:15], v12 offset0:86 offset1:176
	;; [unrolled: 1-line block ×4, first 2 shown]
	v_lshlrev_b32_e32 v29, 4, v28
	v_sub_u32_e32 v4, v25, v29
	ds_read_b64 v[40:41], v4
	ds_read_b64 v[44:45], v60 offset:6192
	v_cmp_gt_u32_e64 s[2:3], 36, v24
	v_cmp_lt_u32_e64 s[4:5], 35, v24
	s_and_saveexec_b64 s[6:7], s[4:5]
	s_xor_b64 s[4:5], exec, s[6:7]
; %bb.16:
                                        ; implicit-def: $vgpr31
; %bb.17:
	s_andn2_saveexec_b64 s[4:5], s[4:5]
	s_cbranch_execz .LBB0_19
; %bb.18:
	v_lshlrev_b32_e32 v4, 4, v36
	v_sub_u32_e32 v31, v31, v4
	v_add_u32_e32 v4, 0x600, v60
	ds_read2_b64 v[46:49], v4 offset0:60 offset1:204
	v_add_u32_e32 v4, 0x1000, v60
	ds_read_b64 v[52:53], v60 offset:6624
	ds_read2_b64 v[4:7], v4 offset0:28 offset1:172
	ds_read_b64 v[38:39], v31
	s_waitcnt lgkmcnt(2)
	v_mov_b32_e32 v42, v52
	v_mov_b32_e32 v50, v47
	;; [unrolled: 1-line block ×3, first 2 shown]
	s_waitcnt lgkmcnt(1)
	v_mov_b32_e32 v43, v7
	v_mov_b32_e32 v48, v49
	;; [unrolled: 1-line block ×4, first 2 shown]
	v_mov_b64_e32 v[54:55], v[4:5]
.LBB0_19:
	s_or_b64 exec, exec, s[4:5]
	s_movk_i32 s4, 0xab
	v_mul_lo_u16_sdwa v4, v36, s4 dst_sel:DWORD dst_unused:UNUSED_PAD src0_sel:BYTE_0 src1_sel:DWORD
	v_lshrrev_b16_e32 v31, 9, v4
	v_mul_lo_u16_e32 v4, 3, v31
	v_mov_b32_e32 v35, 5
	v_sub_u16_e32 v33, v36, v4
	v_mul_u32_u24_sdwa v4, v33, v35 dst_sel:DWORD dst_unused:UNUSED_PAD src0_sel:BYTE_0 src1_sel:DWORD
	v_lshlrev_b32_e32 v4, 3, v4
	global_load_dwordx4 v[56:59], v4, s[8:9]
	global_load_dwordx4 v[62:65], v4, s[8:9] offset:16
	v_mul_lo_u16_sdwa v5, v24, s4 dst_sel:DWORD dst_unused:UNUSED_PAD src0_sel:BYTE_0 src1_sel:DWORD
	v_lshrrev_b16_e32 v37, 9, v5
	v_mul_lo_u16_e32 v5, 3, v37
	v_sub_u16_e32 v61, v24, v5
	v_mul_u32_u24_sdwa v5, v61, v35 dst_sel:DWORD dst_unused:UNUSED_PAD src0_sel:BYTE_0 src1_sel:DWORD
	v_lshlrev_b32_e32 v82, 3, v5
	global_load_dwordx2 v[66:67], v4, s[8:9] offset:32
	s_mov_b32 s10, -0.5
	s_waitcnt vmcnt(2)
	v_pk_mul_f32 v[4:5], v[50:51], v[56:57] op_sel_hi:[0,1]
	v_pk_mul_f32 v[52:53], v[48:49], v[58:59] op_sel_hi:[0,1]
	v_pk_fma_f32 v[46:47], v[48:49], v[56:57], v[4:5] op_sel:[1,0,1] op_sel_hi:[1,1,0]
	v_pk_fma_f32 v[48:49], v[48:49], v[56:57], v[4:5] op_sel:[1,0,1] op_sel_hi:[1,1,0] neg_lo:[1,0,0] neg_hi:[1,0,0]
	v_pk_fma_f32 v[56:57], v[50:51], v[58:59], v[52:53] op_sel:[0,0,1] op_sel_hi:[1,1,0] neg_lo:[1,0,0] neg_hi:[1,0,0]
	v_pk_fma_f32 v[4:5], v[50:51], v[58:59], v[52:53] op_sel:[1,0,1] op_sel_hi:[1,1,0]
	s_waitcnt vmcnt(1)
	v_pk_mul_f32 v[50:51], v[54:55], v[62:63] op_sel:[1,0]
	v_pk_mul_f32 v[68:69], v[42:43], v[64:65] op_sel:[1,0]
	v_pk_fma_f32 v[52:53], v[54:55], v[62:63], v[50:51] op_sel:[0,0,1] op_sel_hi:[1,1,0]
	v_pk_fma_f32 v[58:59], v[54:55], v[62:63], v[50:51] op_sel:[0,0,1] op_sel_hi:[0,1,0] neg_lo:[1,0,0] neg_hi:[1,0,0]
	v_pk_fma_f32 v[54:55], v[6:7], v[64:65], v[68:69] op_sel:[0,0,1] op_sel_hi:[0,1,0] neg_lo:[1,0,0] neg_hi:[1,0,0]
	v_pk_fma_f32 v[50:51], v[6:7], v[64:65], v[68:69] op_sel:[0,0,1] op_sel_hi:[0,1,0]
	global_load_dwordx2 v[68:69], v82, s[8:9] offset:32
	v_mul_lo_u16_sdwa v5, v28, s4 dst_sel:DWORD dst_unused:UNUSED_PAD src0_sel:BYTE_0 src1_sel:DWORD
	v_lshrrev_b16_e32 v47, 9, v5
	v_mul_lo_u16_e32 v5, 3, v47
	v_sub_u16_e32 v48, v28, v5
	v_mul_u32_u24_sdwa v5, v48, v35 dst_sel:DWORD dst_unused:UNUSED_PAD src0_sel:BYTE_0 src1_sel:DWORD
	v_lshlrev_b32_e32 v5, 3, v5
	s_waitcnt vmcnt(1)
	v_pk_mul_f32 v[62:63], v[6:7], v[66:67] op_sel:[1,0]
	s_mov_b32 s4, 0x3f5db3d7
	v_pk_fma_f32 v[6:7], v[42:43], v[66:67], v[62:63] op_sel:[0,0,1] op_sel_hi:[1,1,0]
	v_pk_fma_f32 v[42:43], v[42:43], v[66:67], v[62:63] op_sel:[0,0,1] op_sel_hi:[0,1,0] neg_lo:[1,0,0] neg_hi:[1,0,0]
	global_load_dwordx4 v[62:65], v5, s[8:9]
	s_mov_b32 s5, 0.5
	s_mov_b32 s6, s5
	s_mov_b32 s7, s4
	;; [unrolled: 1-line block ×3, first 2 shown]
	v_mov_b32_e32 v53, v59
	v_mov_b32_e32 v7, v43
	;; [unrolled: 1-line block ×3, first 2 shown]
	s_waitcnt vmcnt(1) lgkmcnt(2)
	v_pk_mul_f32 v[66:67], v[68:69], v[22:23] op_sel:[0,1]
	s_nop 0
	v_pk_fma_f32 v[70:71], v[68:69], v[22:23], v[66:67] op_sel:[0,0,1] op_sel_hi:[1,1,0]
	v_pk_fma_f32 v[72:73], v[68:69], v[22:23], v[66:67] op_sel:[0,0,1] op_sel_hi:[1,0,0] neg_lo:[1,0,0] neg_hi:[1,0,0]
	global_load_dwordx2 v[74:75], v5, s[8:9] offset:32
	global_load_dwordx4 v[66:69], v5, s[8:9] offset:16
	v_mov_b32_e32 v71, v73
	s_waitcnt vmcnt(0)
	v_mov_b32_e32 v22, v69
	v_pk_mul_f32 v[22:23], v[20:21], v[22:23] op_sel_hi:[1,0]
	s_nop 0
	v_pk_fma_f32 v[76:77], v[20:21], v[68:69], v[22:23] op_sel:[0,0,1] op_sel_hi:[1,1,0]
	v_pk_fma_f32 v[78:79], v[20:21], v[68:69], v[22:23] op_sel:[0,0,1] op_sel_hi:[1,0,0] neg_lo:[0,0,1] neg_hi:[0,0,1]
	v_pk_mul_f32 v[20:21], v[66:67], v[16:17] op_sel:[0,1]
	v_mov_b32_e32 v77, v79
	v_pk_fma_f32 v[80:81], v[66:67], v[16:17], v[20:21] op_sel:[0,0,1] op_sel_hi:[1,1,0]
	v_pk_fma_f32 v[16:17], v[66:67], v[16:17], v[20:21] op_sel:[0,0,1] op_sel_hi:[1,0,0] neg_lo:[1,0,0] neg_hi:[1,0,0]
	global_load_dwordx4 v[20:23], v82, s[8:9] offset:16
	global_load_dwordx4 v[66:69], v82, s[8:9]
	s_waitcnt lgkmcnt(0)
	; wave barrier
	s_waitcnt lgkmcnt(0)
	v_mov_b32_e32 v81, v17
	s_waitcnt vmcnt(1)
	v_pk_mul_f32 v[82:83], v[22:23], v[18:19] op_sel:[0,1]
	s_nop 0
	v_pk_fma_f32 v[84:85], v[22:23], v[18:19], v[82:83] op_sel:[0,0,1] op_sel_hi:[1,1,0]
	v_pk_fma_f32 v[18:19], v[22:23], v[18:19], v[82:83] op_sel:[0,0,1] op_sel_hi:[1,0,0] neg_lo:[1,0,0] neg_hi:[1,0,0]
	v_pk_mul_f32 v[22:23], v[20:21], v[14:15] op_sel:[0,1]
	v_mov_b32_e32 v85, v19
	v_pk_fma_f32 v[82:83], v[20:21], v[14:15], v[22:23] op_sel:[0,0,1] op_sel_hi:[1,1,0]
	v_pk_fma_f32 v[14:15], v[20:21], v[14:15], v[22:23] op_sel:[0,0,1] op_sel_hi:[1,0,0] neg_lo:[1,0,0] neg_hi:[1,0,0]
	v_pk_mul_f32 v[20:21], v[64:65], v[12:13] op_sel:[0,1]
	v_mov_b32_e32 v83, v15
	v_pk_fma_f32 v[86:87], v[64:65], v[12:13], v[20:21] op_sel:[0,0,1] op_sel_hi:[1,1,0]
	v_pk_fma_f32 v[20:21], v[64:65], v[12:13], v[20:21] op_sel:[0,0,1] op_sel_hi:[1,0,0] neg_lo:[1,0,0] neg_hi:[1,0,0]
	v_pk_mul_f32 v[12:13], v[62:63], v[8:9] op_sel:[0,1]
	v_pk_add_f32 v[14:15], v[82:83], v[70:71] neg_lo:[0,1] neg_hi:[0,1]
	v_pk_fma_f32 v[64:65], v[62:63], v[8:9], v[12:13] op_sel:[0,0,1] op_sel_hi:[1,0,0]
	v_pk_fma_f32 v[62:63], v[62:63], v[8:9], v[12:13] op_sel:[0,0,1] op_sel_hi:[1,0,0] neg_lo:[1,0,0] neg_hi:[1,0,0]
	v_pk_mul_f32 v[8:9], v[44:45], v[74:75] op_sel:[0,1]
	v_mov_b32_e32 v87, v21
	v_pk_fma_f32 v[88:89], v[44:45], v[74:75], v[8:9] op_sel:[0,0,1] op_sel_hi:[1,1,0]
	v_pk_fma_f32 v[22:23], v[44:45], v[74:75], v[8:9] op_sel:[0,0,1] op_sel_hi:[1,0,0] neg_lo:[0,0,1] neg_hi:[0,0,1]
	s_waitcnt vmcnt(0)
	v_pk_mul_f32 v[8:9], v[68:69], v[10:11] op_sel:[0,1]
	v_mov_b32_e32 v89, v23
	v_pk_fma_f32 v[12:13], v[68:69], v[10:11], v[8:9] op_sel:[0,0,1] op_sel_hi:[1,1,0]
	v_pk_fma_f32 v[8:9], v[68:69], v[10:11], v[8:9] op_sel:[0,0,1] op_sel_hi:[1,0,0] neg_lo:[1,0,0] neg_hi:[1,0,0]
	v_pk_mul_f32 v[10:11], v[66:67], v[2:3] op_sel:[0,1]
	v_mov_b32_e32 v13, v9
	v_pk_add_f32 v[8:9], v[12:13], v[84:85]
	v_pk_fma_f32 v[44:45], v[66:67], v[2:3], v[10:11] op_sel:[0,0,1] op_sel_hi:[1,0,0]
	v_pk_fma_f32 v[2:3], v[66:67], v[2:3], v[10:11] op_sel:[0,0,1] op_sel_hi:[1,0,0] neg_lo:[1,0,0] neg_hi:[1,0,0]
	v_pk_fma_f32 v[8:9], v[8:9], 0.5, v[0:1] op_sel_hi:[1,0,1] neg_lo:[1,0,0] neg_hi:[1,0,0]
	v_pk_add_f32 v[0:1], v[0:1], v[12:13]
	v_pk_add_f32 v[10:11], v[12:13], v[84:85] neg_lo:[0,1] neg_hi:[0,1]
	v_pk_add_f32 v[12:13], v[82:83], v[70:71]
	v_mov_b32_e32 v45, v3
	v_fmac_f32_e32 v3, -0.5, v13
	v_pk_add_f32 v[18:19], v[44:45], v[82:83]
	v_fmac_f32_e32 v44, -0.5, v12
	v_pk_mul_f32 v[10:11], v[10:11], s[4:5] op_sel_hi:[1,0]
	v_fmamk_f32 v2, v14, 0x3f5db3d7, v3
	v_pk_add_f32 v[66:67], v[8:9], v[10:11] op_sel:[0,1] op_sel_hi:[1,0] neg_lo:[0,1] neg_hi:[0,1]
	v_pk_add_f32 v[68:69], v[8:9], v[10:11] op_sel:[0,1] op_sel_hi:[1,0]
	v_pk_mul_f32 v[8:9], v[2:3], s[4:5] op_sel_hi:[0,1]
	v_fmamk_f32 v2, v15, 0xbf5db3d7, v44
	v_mov_b32_e32 v13, 3
	v_pk_add_f32 v[18:19], v[18:19], v[70:71]
	v_pk_fma_f32 v[70:71], v[2:3], s[6:7], v[8:9] neg_lo:[0,0,1] neg_hi:[0,0,1]
	v_pk_fma_f32 v[8:9], v[2:3], s[6:7], v[8:9] op_sel_hi:[0,1,1]
	v_mul_u32_u24_e32 v2, 0x90, v37
	v_lshlrev_b32_sdwa v5, v13, v61 dst_sel:DWORD dst_unused:UNUSED_PAD src0_sel:DWORD src1_sel:BYTE_0
	v_fmac_f32_e32 v3, 0xbf5db3d7, v14
	v_add3_u32 v35, 0, v2, v5
	v_mov_b32_e32 v2, v3
	v_fmac_f32_e32 v44, 0x3f5db3d7, v15
	v_pk_mul_f32 v[2:3], v[2:3], s[4:5] op_sel_hi:[0,1]
	v_pk_add_f32 v[0:1], v[0:1], v[84:85]
	v_mov_b32_e32 v73, v69
	v_pk_fma_f32 v[44:45], v[44:45], s[10:11], v[2:3] op_sel_hi:[0,1,1] neg_lo:[0,0,1] neg_hi:[0,0,1]
	v_mov_b32_e32 v69, v67
	v_mov_b32_e32 v71, v9
	;; [unrolled: 1-line block ×3, first 2 shown]
	v_pk_add_f32 v[8:9], v[0:1], v[18:19]
	v_pk_add_f32 v[0:1], v[0:1], v[18:19] neg_lo:[0,1] neg_hi:[0,1]
	v_pk_add_f32 v[2:3], v[68:69], v[44:45]
	v_pk_add_f32 v[10:11], v[72:73], v[70:71]
	ds_write2_b64 v35, v[2:3], v[0:1] offset0:6 offset1:9
	v_pk_add_f32 v[0:1], v[52:53], v[6:7]
	ds_write2_b64 v35, v[8:9], v[10:11] offset1:3
	v_fma_f32 v0, -0.5, v0, v46
	v_pk_add_f32 v[2:3], v[52:53], v[6:7] neg_lo:[0,1] neg_hi:[0,1]
	v_fma_f32 v10, -0.5, v1, v49
	v_mov_b32_e32 v5, v57
	v_fmamk_f32 v12, v3, 0xbf5db3d7, v0
	v_fmac_f32_e32 v0, 0x3f5db3d7, v3
	v_fmamk_f32 v16, v2, 0x3f5db3d7, v10
	v_fmac_f32_e32 v10, 0xbf5db3d7, v2
	v_pk_add_f32 v[2:3], v[4:5], v[50:51]
	v_pk_mul_f32 v[10:11], v[10:11], s[4:5] op_sel_hi:[0,1]
	v_pk_fma_f32 v[8:9], v[2:3], 0.5, v[38:39] op_sel_hi:[1,0,1] neg_lo:[1,0,0] neg_hi:[1,0,0]
	v_pk_add_f32 v[2:3], v[4:5], v[50:51] neg_lo:[0,1] neg_hi:[0,1]
	v_pk_fma_f32 v[0:1], v[0:1], s[10:11], v[10:11] op_sel_hi:[0,1,1] neg_lo:[0,0,1] neg_hi:[0,0,1]
	v_pk_mul_f32 v[14:15], v[2:3], s[4:5] op_sel_hi:[1,0]
	v_mul_u32_u24_e32 v10, 0x90, v47
	v_pk_add_f32 v[2:3], v[8:9], v[14:15] op_sel:[0,1] op_sel_hi:[1,0] neg_lo:[0,1] neg_hi:[0,1]
	v_pk_add_f32 v[8:9], v[14:15], v[8:9] op_sel:[1,0] op_sel_hi:[0,1]
	v_mul_f32_e32 v14, 0xbf5db3d7, v16
	v_mul_f32_e32 v15, 0.5, v16
	v_lshlrev_b32_sdwa v11, v13, v48 dst_sel:DWORD dst_unused:UNUSED_PAD src0_sel:DWORD src1_sel:BYTE_0
	v_pk_add_f32 v[16:17], v[72:73], v[70:71] neg_lo:[0,1] neg_hi:[0,1]
	v_pk_add_f32 v[18:19], v[68:69], v[44:45] neg_lo:[0,1] neg_hi:[0,1]
	v_add3_u32 v37, 0, v10, v11
	v_mov_b32_e32 v10, v8
	ds_write2_b64 v35, v[16:17], v[18:19] offset0:12 offset1:15
	v_pk_add_f32 v[16:17], v[80:81], v[88:89]
	v_mov_b32_e32 v8, v64
	v_mov_b32_e32 v65, v63
	v_fmac_f32_e32 v8, -0.5, v16
	v_pk_add_f32 v[44:45], v[80:81], v[88:89] neg_lo:[0,1] neg_hi:[0,1]
	v_fmac_f32_e32 v63, -0.5, v17
	v_fmamk_f32 v16, v45, 0xbf5db3d7, v8
	v_fmac_f32_e32 v8, 0x3f5db3d7, v45
	v_fmamk_f32 v48, v44, 0x3f5db3d7, v63
	v_fmac_f32_e32 v63, 0xbf5db3d7, v44
	v_pk_add_f32 v[44:45], v[86:87], v[76:77]
	v_pk_add_f32 v[54:55], v[86:87], v[76:77] neg_lo:[0,1] neg_hi:[0,1]
	v_pk_add_f32 v[42:43], v[40:41], v[86:87]
	v_pk_fma_f32 v[40:41], v[44:45], 0.5, v[40:41] op_sel_hi:[1,0,1] neg_lo:[1,0,0] neg_hi:[1,0,0]
	v_pk_mul_f32 v[54:55], v[54:55], s[4:5] op_sel_hi:[1,0]
	v_pk_add_f32 v[18:19], v[64:65], v[80:81]
	v_pk_add_f32 v[56:57], v[40:41], v[54:55] op_sel:[0,1] op_sel_hi:[1,0] neg_lo:[0,1] neg_hi:[0,1]
	v_pk_add_f32 v[40:41], v[40:41], v[54:55] op_sel:[0,1] op_sel_hi:[1,0]
	v_pk_mul_f32 v[54:55], v[48:49], s[4:5] op_sel_hi:[0,1]
	v_pk_fma_f32 v[58:59], v[16:17], s[6:7], v[54:55] neg_lo:[0,0,1] neg_hi:[0,0,1]
	v_pk_fma_f32 v[16:17], v[16:17], s[6:7], v[54:55] op_sel_hi:[0,1,1]
	v_pk_add_f32 v[42:43], v[42:43], v[76:77]
	v_pk_add_f32 v[18:19], v[18:19], v[88:89]
	v_mov_b32_e32 v54, v56
	v_mov_b32_e32 v55, v41
	;; [unrolled: 1-line block ×3, first 2 shown]
	v_pk_add_f32 v[44:45], v[42:43], v[18:19]
	v_pk_add_f32 v[16:17], v[54:55], v[58:59]
	ds_write2_b64 v37, v[44:45], v[16:17] offset1:3
	v_mov_b32_e32 v16, v63
	v_pk_mul_f32 v[16:17], v[16:17], s[4:5] op_sel_hi:[0,1]
	v_pk_fma_f32 v[16:17], v[8:9], s[10:11], v[16:17] op_sel_hi:[0,1,1] neg_lo:[0,0,1] neg_hi:[0,0,1]
	v_mov_b32_e32 v41, v57
	v_fmac_f32_e32 v14, 0.5, v12
	v_fmac_f32_e32 v15, 0x3f5db3d7, v12
	v_mov_b32_e32 v11, v3
	v_pk_add_f32 v[44:45], v[40:41], v[16:17]
	v_pk_add_f32 v[18:19], v[42:43], v[18:19] neg_lo:[0,1] neg_hi:[0,1]
	v_sub_u32_e32 v12, 0, v29
	v_sub_f32_e32 v20, v2, v14
	v_sub_f32_e32 v21, v9, v15
	v_pk_add_f32 v[22:23], v[10:11], v[0:1] neg_lo:[0,1] neg_hi:[0,1]
	ds_write2_b64 v37, v[44:45], v[18:19] offset0:6 offset1:9
	v_pk_add_f32 v[18:19], v[54:55], v[58:59] neg_lo:[0,1] neg_hi:[0,1]
	v_pk_add_f32 v[16:17], v[40:41], v[16:17] neg_lo:[0,1] neg_hi:[0,1]
	ds_write2_b64 v37, v[18:19], v[16:17] offset0:12 offset1:15
	s_and_saveexec_b64 s[4:5], s[2:3]
	s_cbranch_execz .LBB0_21
; %bb.20:
	v_mov_b32_e32 v47, v49
	v_pk_add_f32 v[16:17], v[46:47], v[52:53]
	v_pk_add_f32 v[4:5], v[38:39], v[4:5]
	v_add_f32_e32 v3, v9, v15
	v_mul_u32_u24_e32 v8, 0x90, v31
	v_lshlrev_b32_sdwa v9, v13, v33 dst_sel:DWORD dst_unused:UNUSED_PAD src0_sel:DWORD src1_sel:BYTE_0
	v_pk_add_f32 v[4:5], v[4:5], v[50:51]
	v_pk_add_f32 v[6:7], v[16:17], v[6:7]
	v_add_f32_e32 v2, v2, v14
	v_add3_u32 v13, 0, v8, v9
	v_pk_add_f32 v[8:9], v[4:5], v[6:7]
	ds_write2_b64 v13, v[8:9], v[2:3] offset1:3
	v_pk_add_f32 v[0:1], v[10:11], v[0:1]
	v_pk_add_f32 v[2:3], v[4:5], v[6:7] neg_lo:[0,1] neg_hi:[0,1]
	ds_write2_b64 v13, v[0:1], v[2:3] offset0:6 offset1:9
	ds_write2_b64 v13, v[20:21], v[22:23] offset0:12 offset1:15
.LBB0_21:
	s_or_b64 exec, exec, s[4:5]
	v_mov_b32_e32 v0, 57
	v_mul_lo_u16_sdwa v0, v24, v0 dst_sel:DWORD dst_unused:UNUSED_PAD src0_sel:BYTE_0 src1_sel:DWORD
	v_lshrrev_b16_e32 v14, 10, v0
	v_mul_lo_u16_e32 v0, 18, v14
	v_sub_u16_e32 v15, v24, v0
	v_mov_b32_e32 v0, 15
	v_mul_u32_u24_sdwa v0, v15, v0 dst_sel:DWORD dst_unused:UNUSED_PAD src0_sel:BYTE_0 src1_sel:DWORD
	v_lshlrev_b32_e32 v29, 3, v0
	s_waitcnt lgkmcnt(0)
	; wave barrier
	s_waitcnt lgkmcnt(0)
	global_load_dwordx4 v[0:3], v29, s[8:9] offset:120
	global_load_dwordx4 v[8:11], v29, s[8:9] offset:136
	;; [unrolled: 1-line block ×5, first 2 shown]
	v_lshl_add_u32 v57, v36, 3, 0
	v_add_u32_e32 v58, v25, v12
	v_lshl_add_u32 v56, v34, 3, 0
	v_lshl_add_u32 v55, v32, 3, 0
	;; [unrolled: 1-line block ×3, first 2 shown]
	v_add_u32_e32 v25, 0x800, v60
	ds_read_b64 v[46:47], v57
	ds_read_b64 v[48:49], v54
	;; [unrolled: 1-line block ×4, first 2 shown]
	ds_read2_b64 v[42:45], v25 offset0:68 offset1:122
	ds_read_b64 v[62:63], v56
	v_add_u32_e32 v31, 0x1000, v60
	s_waitcnt lgkmcnt(4)
	v_mov_b32_e32 v64, v49
	s_waitcnt lgkmcnt(2)
	v_mov_b32_e32 v66, v53
	;; [unrolled: 2-line block ×3, first 2 shown]
	v_mov_b32_e32 v65, v51
	v_mov_b32_e32 v69, v47
	s_mov_b32 s2, 0x3f3504f3
	s_mov_b32 s4, 0x3f6c835e
	;; [unrolled: 1-line block ×3, first 2 shown]
	s_waitcnt vmcnt(4)
	v_mul_f32_e32 v70, v0, v50
	s_waitcnt vmcnt(3) lgkmcnt(0)
	v_pk_mul_f32 v[72:73], v[8:9], v[62:63] op_sel:[0,1]
	s_waitcnt vmcnt(2)
	v_mul_f32_e32 v75, v43, v7
	v_pk_fma_f32 v[12:13], v[8:9], v[62:63], v[72:73] op_sel:[0,0,1] op_sel_hi:[1,1,0]
	v_pk_fma_f32 v[62:63], v[8:9], v[62:63], v[72:73] op_sel:[0,0,1] op_sel_hi:[1,0,0] neg_lo:[1,0,0] neg_hi:[1,0,0]
	v_mov_b32_e32 v8, v11
	v_mov_b32_e32 v9, v10
	v_pk_mul_f32 v[8:9], v[8:9], v[52:53] op_sel_hi:[1,0]
	v_mul_f32_e32 v73, v49, v5
	v_pk_fma_f32 v[66:67], v[10:11], v[66:67], v[8:9] neg_lo:[0,0,1] neg_hi:[0,0,1]
	v_pk_fma_f32 v[52:53], v[10:11], v[52:53], v[8:9] op_sel:[0,1,0]
	v_mov_b32_e32 v9, v0
	v_mov_b32_e32 v0, v5
	;; [unrolled: 1-line block ×3, first 2 shown]
	v_mul_f32_e32 v50, v2, v46
	v_mov_b32_e32 v11, v2
	v_mov_b32_e32 v2, v7
	v_mov_b32_e32 v43, v46
	v_mul_f32_e32 v72, v1, v51
	v_mul_f32_e32 v51, v42, v6
	v_mov_b32_e32 v10, v6
	v_mul_f32_e32 v74, v3, v47
	v_pk_mul_f32 v[6:7], v[0:1], v[48:49]
	v_pk_mul_f32 v[42:43], v[2:3], v[42:43]
	ds_read2_b64 v[0:3], v31 offset0:28 offset1:82
	v_mov_b32_e32 v8, v4
	v_pk_fma_f32 v[46:47], v[8:9], v[64:65], v[6:7] neg_lo:[0,0,1] neg_hi:[0,0,1]
	s_waitcnt vmcnt(0)
	v_mov_b32_e32 v8, v39
	v_pk_fma_f32 v[42:43], v[10:11], v[68:69], v[42:43] neg_lo:[0,0,1] neg_hi:[0,0,1]
	s_waitcnt lgkmcnt(0)
	v_pk_mul_f32 v[10:11], v[2:3], v[38:39] op_sel:[1,0] op_sel_hi:[0,1]
	v_pk_mul_f32 v[64:65], v[2:3], v[8:9] op_sel:[1,0] op_sel_hi:[0,1]
	v_mov_b32_e32 v13, v10
	ds_read2_b64 v[8:11], v31 offset0:136 offset1:190
	v_mul_f32_e32 v71, v48, v4
	v_pk_mul_f32 v[4:5], v[44:45], v[16:17] op_sel:[0,1]
	v_pk_fma_f32 v[64:65], v[2:3], v[38:39], v[64:65]
	v_pk_fma_f32 v[48:49], v[44:45], v[16:17], v[4:5] op_sel:[0,0,1] op_sel_hi:[1,1,0]
	v_pk_fma_f32 v[44:45], v[44:45], v[16:17], v[4:5] op_sel:[0,0,1] op_sel_hi:[1,0,0] neg_lo:[0,0,1] neg_hi:[0,0,1]
	v_mov_b32_e32 v16, v41
	v_mov_b32_e32 v17, v40
	s_waitcnt lgkmcnt(0)
	v_pk_mul_f32 v[16:17], v[8:9], v[16:17] op_sel_hi:[0,1]
	v_pk_fma_f32 v[68:69], v[2:3], v[38:39], v[12:13] op_sel:[1,0,0] op_sel_hi:[0,1,1] neg_lo:[1,0,0] neg_hi:[1,0,0]
	v_mov_b32_e32 v2, v9
	v_pk_fma_f32 v[76:77], v[2:3], v[40:41], v[16:17] neg_lo:[0,0,1] neg_hi:[0,0,1]
	v_pk_fma_f32 v[8:9], v[8:9], v[40:41], v[16:17] op_sel:[1,0,0]
	ds_read2_b64 v[38:41], v25 offset0:176 offset1:230
	v_mov_b32_e32 v2, v19
	global_load_dwordx4 v[4:7], v29, s[8:9] offset:184
	v_mov_b32_e32 v80, v11
	v_mov_b32_e32 v67, v53
	s_waitcnt lgkmcnt(0)
	v_pk_mul_f32 v[2:3], v[38:39], v[2:3] op_sel_hi:[1,0]
	v_mov_b32_e32 v81, v41
	v_pk_fma_f32 v[78:79], v[38:39], v[18:19], v[2:3] op_sel:[0,0,1] op_sel_hi:[1,1,0]
	v_pk_fma_f32 v[38:39], v[38:39], v[18:19], v[2:3] op_sel:[0,0,1] op_sel_hi:[1,0,0] neg_lo:[0,0,1] neg_hi:[0,0,1]
	global_load_dwordx4 v[16:19], v29, s[8:9] offset:216
	global_load_dwordx2 v[82:83], v29, s[8:9] offset:232
	v_mov_b32_e32 v2, v41
	v_mov_b32_e32 v3, v11
	v_mov_b32_e32 v41, v10
	v_mov_b32_e32 v11, v40
	v_add_u32_e32 v29, 0x1400, v60
	v_mov_b32_e32 v79, v39
	v_mov_b32_e32 v77, v9
	v_pk_add_f32 v[38:39], v[66:67], v[76:77] neg_lo:[0,1] neg_hi:[0,1]
	v_mov_b32_e32 v62, v45
	v_pk_fma_f32 v[66:67], v[66:67], 2.0, v[38:39] op_sel_hi:[1,0,1] neg_lo:[0,0,1] neg_hi:[0,0,1]
	v_mov_b32_e32 v49, v45
	v_mov_b32_e32 v13, v63
	s_waitcnt vmcnt(2)
	v_mov_b32_e32 v84, v5
	s_waitcnt vmcnt(1)
	v_mov_b32_e32 v85, v17
	v_pk_mul_f32 v[2:3], v[2:3], v[84:85]
	v_mov_b32_e32 v84, v4
	v_mov_b32_e32 v85, v16
	v_pk_fma_f32 v[40:41], v[40:41], v[84:85], v[2:3]
	v_mov_b32_e32 v3, v4
	v_mov_b32_e32 v4, v17
	v_pk_mul_f32 v[4:5], v[10:11], v[4:5]
	v_mov_b32_e32 v2, v16
	v_pk_fma_f32 v[10:11], v[80:81], v[2:3], v[4:5] neg_lo:[0,0,1] neg_hi:[0,0,1]
	ds_read2_b64 v[2:5], v29 offset0:116 offset1:170
	s_waitcnt vmcnt(0)
	v_mov_b32_e32 v8, v83
	v_mov_b32_e32 v16, v1
	;; [unrolled: 1-line block ×3, first 2 shown]
	v_pk_add_f32 v[10:11], v[46:47], v[10:11] neg_lo:[0,1] neg_hi:[0,1]
	s_waitcnt lgkmcnt(0)
	v_pk_mul_f32 v[86:87], v[4:5], v[82:83] op_sel:[1,0] op_sel_hi:[0,1]
	v_pk_mul_f32 v[84:85], v[4:5], v[8:9] op_sel:[1,0] op_sel_hi:[0,1]
	v_mov_b32_e32 v8, v87
	v_mov_b32_e32 v17, v3
	v_mov_b32_e32 v80, v3
	v_mov_b32_e32 v3, v0
	v_pk_fma_f32 v[84:85], v[4:5], v[82:83], v[84:85]
	v_pk_fma_f32 v[4:5], v[4:5], v[82:83], v[8:9] op_sel:[1,0,0] op_sel_hi:[0,1,1] neg_lo:[0,0,1] neg_hi:[0,0,1]
	v_mov_b32_e32 v82, v6
	v_mov_b32_e32 v87, v6
	;; [unrolled: 1-line block ×4, first 2 shown]
	v_pk_mul_f32 v[2:3], v[2:3], v[6:7]
	v_mov_b32_e32 v6, v7
	v_mov_b32_e32 v7, v19
	v_pk_mul_f32 v[6:7], v[16:17], v[6:7]
	ds_read_b64 v[16:17], v60
	v_mov_b32_e32 v83, v18
	v_mov_b32_e32 v86, v18
	v_pk_fma_f32 v[0:1], v[0:1], v[82:83], v[6:7]
	v_pk_fma_f32 v[2:3], v[80:81], v[86:87], v[2:3] neg_lo:[0,0,1] neg_hi:[0,0,1]
	v_pk_add_f32 v[18:19], v[50:51], v[74:75]
	v_pk_add_f32 v[2:3], v[42:43], v[2:3] neg_lo:[0,1] neg_hi:[0,1]
	v_pk_add_f32 v[0:1], v[18:19], v[0:1] neg_lo:[0,1] neg_hi:[0,1]
	s_waitcnt lgkmcnt(0)
	v_pk_add_f32 v[8:9], v[16:17], v[78:79] neg_lo:[0,1] neg_hi:[0,1]
	v_pk_add_f32 v[50:51], v[2:3], v[0:1]
	v_pk_add_f32 v[52:53], v[2:3], v[0:1] neg_lo:[0,1] neg_hi:[0,1]
	v_mov_b32_e32 v5, v69
	v_mov_b32_e32 v51, v53
	v_pk_add_f32 v[52:53], v[8:9], v[38:39]
	v_pk_add_f32 v[68:69], v[8:9], v[38:39] neg_lo:[0,1] neg_hi:[0,1]
	v_pk_add_f32 v[6:7], v[70:71], v[72:73]
	v_mov_b32_e32 v53, v69
	v_pk_mul_f32 v[70:71], v[50:51], s[2:3] op_sel_hi:[1,0]
	v_pk_fma_f32 v[72:73], v[50:51], s[2:3], v[52:53] op_sel_hi:[1,0,1]
	v_mov_b32_e32 v68, v18
	v_pk_add_f32 v[74:75], v[72:73], v[70:71] op_sel:[0,1] op_sel_hi:[1,0]
	v_pk_add_f32 v[70:71], v[72:73], v[70:71] op_sel:[0,1] op_sel_hi:[1,0] neg_lo:[0,1] neg_hi:[0,1]
	v_mov_b32_e32 v18, v19
	v_fma_f32 v33, v69, 2.0, -v71
	v_mov_b32_e32 v69, v43
	v_mov_b32_e32 v19, v42
	;; [unrolled: 1-line block ×6, first 2 shown]
	v_pk_add_f32 v[2:3], v[6:7], v[40:41] neg_lo:[0,1] neg_hi:[0,1]
	v_mov_b32_e32 v75, v71
	v_pk_fma_f32 v[0:1], v[18:19], 2.0, v[0:1] op_sel_hi:[1,0,1] neg_lo:[0,0,1] neg_hi:[0,0,1]
	v_mov_b32_e32 v18, v6
	v_mov_b32_e32 v6, v7
	;; [unrolled: 1-line block ×4, first 2 shown]
	v_pk_add_f32 v[70:71], v[10:11], v[2:3]
	v_pk_add_f32 v[38:39], v[10:11], v[2:3] neg_lo:[0,1] neg_hi:[0,1]
	v_mov_b32_e32 v2, v3
	v_mov_b32_e32 v3, v10
	v_mov_b32_e32 v65, v84
	v_pk_fma_f32 v[2:3], v[6:7], 2.0, v[2:3] op_sel_hi:[1,0,1] neg_lo:[0,0,1] neg_hi:[0,0,1]
	v_mov_b32_e32 v6, v12
	v_mov_b32_e32 v7, v48
	v_pk_add_f32 v[6:7], v[6:7], v[64:65] neg_lo:[0,1] neg_hi:[0,1]
	v_pk_add_f32 v[4:5], v[62:63], v[4:5] neg_lo:[0,1] neg_hi:[0,1]
	v_mov_b32_e32 v19, v47
	v_mov_b32_e32 v47, v11
	;; [unrolled: 1-line block ×4, first 2 shown]
	v_pk_fma_f32 v[10:11], v[48:49], 2.0, v[10:11] op_sel_hi:[1,0,1] neg_lo:[0,0,1] neg_hi:[0,0,1]
	v_mov_b32_e32 v45, v5
	v_pk_add_f32 v[48:49], v[4:5], v[6:7]
	v_pk_add_f32 v[4:5], v[4:5], v[6:7] neg_lo:[0,1] neg_hi:[0,1]
	v_mov_b32_e32 v71, v39
	v_mov_b32_e32 v49, v5
	;; [unrolled: 1-line block ×3, first 2 shown]
	v_pk_mul_f32 v[4:5], v[48:49], s[2:3] op_sel_hi:[1,0]
	v_pk_fma_f32 v[6:7], v[48:49], s[2:3], v[70:71] op_sel_hi:[1,0,1]
	v_pk_fma_f32 v[16:17], v[16:17], 2.0, v[8:9] op_sel_hi:[1,0,1] neg_lo:[0,0,1] neg_hi:[0,0,1]
	v_pk_add_f32 v[62:63], v[6:7], v[4:5] op_sel:[0,1] op_sel_hi:[1,0]
	v_pk_add_f32 v[4:5], v[6:7], v[4:5] op_sel:[0,1] op_sel_hi:[1,0] neg_lo:[0,1] neg_hi:[0,1]
	v_pk_fma_f32 v[8:9], v[8:9], 2.0, v[52:53] op_sel_hi:[1,0,1] neg_lo:[0,0,1] neg_hi:[0,0,1]
	v_mov_b32_e32 v63, v5
	v_fma_f32 v35, v39, 2.0, -v5
	v_pk_fma_f32 v[4:5], v[62:63], s[4:5], v[74:75] op_sel_hi:[1,0,1]
	v_pk_mul_f32 v[6:7], v[62:63], s[6:7] op_sel_hi:[1,0]
	v_pk_fma_f32 v[18:19], v[18:19], 2.0, v[46:47] op_sel_hi:[1,0,1] neg_lo:[0,0,1] neg_hi:[0,0,1]
	v_pk_add_f32 v[38:39], v[4:5], v[6:7] op_sel:[0,1] op_sel_hi:[1,0]
	v_pk_add_f32 v[40:41], v[4:5], v[6:7] op_sel:[0,1] op_sel_hi:[1,0] neg_lo:[0,1] neg_hi:[0,1]
	v_pk_fma_f32 v[6:7], v[42:43], 2.0, v[50:51] op_sel_hi:[1,0,1] neg_lo:[0,0,1] neg_hi:[0,0,1]
	v_pk_fma_f32 v[4:5], v[68:69], 2.0, v[42:43] op_sel_hi:[1,0,1] neg_lo:[0,0,1] neg_hi:[0,0,1]
	;; [unrolled: 1-line block ×3, first 2 shown]
	v_pk_mul_f32 v[46:47], v[6:7], s[2:3] op_sel_hi:[1,0]
	v_pk_fma_f32 v[6:7], v[6:7], s[2:3], v[8:9] op_sel_hi:[1,0,1] neg_lo:[1,0,0] neg_hi:[1,0,0]
	v_pk_fma_f32 v[12:13], v[12:13], 2.0, v[44:45] op_sel_hi:[1,0,1] neg_lo:[0,0,1] neg_hi:[0,0,1]
	v_pk_fma_f32 v[44:45], v[44:45], 2.0, v[48:49] op_sel_hi:[1,0,1] neg_lo:[0,0,1] neg_hi:[0,0,1]
	v_pk_add_f32 v[50:51], v[6:7], v[46:47] op_sel:[0,1] op_sel_hi:[1,0]
	v_pk_add_f32 v[6:7], v[6:7], v[46:47] op_sel:[0,1] op_sel_hi:[1,0] neg_lo:[0,1] neg_hi:[0,1]
	v_pk_mul_f32 v[46:47], v[44:45], s[2:3] op_sel_hi:[1,0]
	v_pk_fma_f32 v[44:45], v[44:45], s[2:3], v[42:43] op_sel_hi:[1,0,1] neg_lo:[1,0,0] neg_hi:[1,0,0]
	v_mov_b32_e32 v51, v7
	v_pk_add_f32 v[48:49], v[44:45], v[46:47] op_sel:[0,1] op_sel_hi:[1,0]
	v_pk_add_f32 v[44:45], v[44:45], v[46:47] op_sel:[0,1] op_sel_hi:[1,0] neg_lo:[0,1] neg_hi:[0,1]
	v_pk_fma_f32 v[8:9], v[8:9], 2.0, v[50:51] op_sel_hi:[1,0,1] neg_lo:[0,0,1] neg_hi:[0,0,1]
	v_mov_b32_e32 v49, v45
	v_pk_fma_f32 v[42:43], v[42:43], 2.0, v[48:49] op_sel_hi:[1,0,1] neg_lo:[0,0,1] neg_hi:[0,0,1]
	v_fma_f32 v37, v70, 2.0, -v62
	v_pk_fma_f32 v[46:47], v[42:43], s[4:5], v[8:9] op_sel_hi:[1,0,1] neg_lo:[1,0,0] neg_hi:[1,0,0]
	v_pk_mul_f32 v[42:43], v[42:43], s[6:7] op_sel_hi:[1,0]
	v_pk_add_f32 v[0:1], v[4:5], v[0:1] neg_lo:[0,1] neg_hi:[0,1]
	v_pk_add_f32 v[62:63], v[46:47], v[42:43] op_sel:[0,1] op_sel_hi:[1,0]
	v_pk_add_f32 v[42:43], v[46:47], v[42:43] op_sel:[0,1] op_sel_hi:[1,0] neg_lo:[0,1] neg_hi:[0,1]
	v_pk_add_f32 v[46:47], v[16:17], v[66:67] op_sel:[0,1] op_sel_hi:[1,0] neg_lo:[0,1] neg_hi:[0,1]
	v_pk_add_f32 v[2:3], v[18:19], v[2:3] neg_lo:[0,1] neg_hi:[0,1]
	v_pk_add_f32 v[10:11], v[12:13], v[10:11] neg_lo:[0,1] neg_hi:[0,1]
	v_pk_fma_f32 v[16:17], v[16:17], 2.0, v[46:47] op_sel_hi:[1,0,1] neg_lo:[0,0,1] neg_hi:[0,0,1]
	v_pk_fma_f32 v[4:5], v[4:5], 2.0, v[0:1] op_sel_hi:[1,0,1] neg_lo:[0,0,1] neg_hi:[0,0,1]
	;; [unrolled: 1-line block ×4, first 2 shown]
	v_pk_add_f32 v[4:5], v[16:17], v[4:5] neg_lo:[0,1] neg_hi:[0,1]
	v_pk_add_f32 v[12:13], v[18:19], v[12:13] neg_lo:[0,1] neg_hi:[0,1]
	v_mul_u32_u24_e32 v6, 0x120, v14
	v_fma_f32 v39, v52, 2.0, -v74
	v_pk_fma_f32 v[16:17], v[16:17], 2.0, v[4:5] op_sel_hi:[1,0,1] neg_lo:[0,0,1] neg_hi:[0,0,1]
	v_pk_fma_f32 v[18:19], v[18:19], 2.0, v[12:13] op_sel_hi:[1,0,1] neg_lo:[0,0,1] neg_hi:[0,0,1]
	v_or_b32_sdwa v6, v6, v15 dst_sel:DWORD dst_unused:UNUSED_PAD src0_sel:DWORD src1_sel:BYTE_0
	v_fmamk_f32 v14, v37, 0xbec3ef15, v39
	v_pk_add_f32 v[18:19], v[16:17], v[18:19] neg_lo:[0,1] neg_hi:[0,1]
	v_mov_b32_e32 v63, v43
	v_fmamk_f32 v15, v35, 0xbec3ef15, v33
	v_fmac_f32_e32 v14, 0x3f6c835e, v35
	v_lshl_add_u32 v35, v6, 3, 0
	v_pk_fma_f32 v[16:17], v[16:17], 2.0, v[18:19] op_sel_hi:[1,0,1] neg_lo:[0,0,1] neg_hi:[0,0,1]
	v_pk_fma_f32 v[8:9], v[8:9], 2.0, v[62:63] op_sel_hi:[1,0,1] neg_lo:[0,0,1] neg_hi:[0,0,1]
	s_waitcnt lgkmcnt(0)
	; wave barrier
	ds_write2_b64 v35, v[16:17], v[8:9] offset1:18
	v_pk_add_f32 v[8:9], v[46:47], v[0:1] op_sel:[0,1] op_sel_hi:[1,0]
	v_pk_add_f32 v[0:1], v[46:47], v[0:1] op_sel:[0,1] op_sel_hi:[1,0] neg_lo:[0,1] neg_hi:[0,1]
	v_pk_add_f32 v[16:17], v[2:3], v[10:11] op_sel:[0,1] op_sel_hi:[1,0]
	v_pk_add_f32 v[10:11], v[2:3], v[10:11] op_sel:[0,1] op_sel_hi:[1,0] neg_lo:[0,1] neg_hi:[0,1]
	v_mov_b32_e32 v9, v1
	v_mov_b32_e32 v17, v11
	v_pk_fma_f32 v[0:1], v[46:47], 2.0, v[8:9] op_sel_hi:[1,0,1] neg_lo:[0,0,1] neg_hi:[0,0,1]
	v_pk_fma_f32 v[2:3], v[2:3], 2.0, v[16:17] op_sel_hi:[1,0,1] neg_lo:[0,0,1] neg_hi:[0,0,1]
	v_fmamk_f32 v42, v48, 0x3ec3ef15, v50
	v_pk_mul_f32 v[10:11], v[2:3], s[2:3] op_sel_hi:[1,0]
	v_pk_fma_f32 v[2:3], v[2:3], s[2:3], v[0:1] op_sel_hi:[1,0,1] neg_lo:[1,0,0] neg_hi:[1,0,0]
	v_fmamk_f32 v43, v45, 0x3ec3ef15, v7
	v_fmac_f32_e32 v42, 0x3f6c835e, v45
	v_pk_add_f32 v[44:45], v[2:3], v[10:11] op_sel:[0,1] op_sel_hi:[1,0]
	v_pk_add_f32 v[2:3], v[2:3], v[10:11] op_sel:[0,1] op_sel_hi:[1,0] neg_lo:[0,1] neg_hi:[0,1]
	v_fmac_f32_e32 v15, 0xbf6c835e, v37
	v_mov_b32_e32 v45, v3
	v_fma_f32 v52, v39, 2.0, -v14
	v_fma_f32 v53, v33, 2.0, -v15
	v_pk_fma_f32 v[0:1], v[0:1], 2.0, v[44:45] op_sel_hi:[1,0,1] neg_lo:[0,0,1] neg_hi:[0,0,1]
	ds_write2_b64 v35, v[0:1], v[52:53] offset0:36 offset1:54
	v_pk_add_f32 v[0:1], v[4:5], v[12:13] op_sel:[0,1] op_sel_hi:[1,0]
	v_pk_add_f32 v[2:3], v[4:5], v[12:13] op_sel:[0,1] op_sel_hi:[1,0] neg_lo:[0,1] neg_hi:[0,1]
	v_fmac_f32_e32 v43, 0xbf6c835e, v48
	v_mov_b32_e32 v1, v3
	v_fma_f32 v6, v50, 2.0, -v42
	v_fma_f32 v7, v7, 2.0, -v43
	v_pk_fma_f32 v[2:3], v[4:5], 2.0, v[0:1] op_sel_hi:[1,0,1] neg_lo:[0,0,1] neg_hi:[0,0,1]
	ds_write2_b64 v35, v[2:3], v[6:7] offset0:72 offset1:90
	v_pk_mul_f32 v[2:3], v[16:17], s[2:3] op_sel_hi:[1,0]
	v_pk_fma_f32 v[4:5], v[16:17], s[2:3], v[8:9] op_sel_hi:[1,0,1]
	v_mov_b32_e32 v39, v41
	v_pk_add_f32 v[6:7], v[4:5], v[2:3] op_sel:[0,1] op_sel_hi:[1,0]
	v_pk_add_f32 v[2:3], v[4:5], v[2:3] op_sel:[0,1] op_sel_hi:[1,0] neg_lo:[0,1] neg_hi:[0,1]
	v_pk_fma_f32 v[4:5], v[74:75], 2.0, v[38:39] op_sel_hi:[1,0,1] neg_lo:[0,0,1] neg_hi:[0,0,1]
	v_mov_b32_e32 v7, v3
	v_pk_fma_f32 v[2:3], v[8:9], 2.0, v[6:7] op_sel_hi:[1,0,1] neg_lo:[0,0,1] neg_hi:[0,0,1]
	ds_write2_b64 v35, v[2:3], v[4:5] offset0:108 offset1:126
	ds_write2_b64 v35, v[18:19], v[62:63] offset0:144 offset1:162
	;; [unrolled: 1-line block ×4, first 2 shown]
	v_add_u32_e32 v0, 0x400, v35
	ds_write2_b64 v0, v[6:7], v[38:39] offset0:124 offset1:142
	v_add_u32_e32 v0, 0xc00, v60
	s_waitcnt lgkmcnt(0)
	; wave barrier
	s_waitcnt lgkmcnt(0)
	ds_read_b64 v[50:51], v60
	ds_read2_b64 v[16:19], v25 offset0:32 offset1:86
	ds_read2_b64 v[0:3], v0 offset0:120 offset1:192
	;; [unrolled: 1-line block ×4, first 2 shown]
	ds_read_b64 v[48:49], v57
	ds_read_b64 v[46:47], v56
	ds_read2_b64 v[4:7], v29 offset0:98 offset1:152
	ds_read_b64 v[52:53], v58
	ds_read_b64 v[42:43], v55
	s_and_saveexec_b64 s[2:3], vcc
	s_cbranch_execz .LBB0_23
; %bb.22:
	ds_read_b64 v[38:39], v54
	ds_read_b64 v[20:21], v60 offset:4464
	ds_read_b64 v[22:23], v60 offset:6768
	s_waitcnt lgkmcnt(2)
	v_mov_b32_e32 v41, v39
.LBB0_23:
	s_or_b64 exec, exec, s[2:3]
	v_lshlrev_b32_e32 v44, 1, v24
	v_mov_b32_e32 v45, 0
	v_lshl_add_u64 v[70:71], v[44:45], 3, s[8:9]
	v_lshlrev_b32_e32 v44, 1, v28
	v_lshl_add_u64 v[72:73], v[44:45], 3, s[8:9]
	global_load_dwordx4 v[62:65], v[72:73], off offset:2280
	global_load_dwordx4 v[66:69], v[70:71], off offset:2280
	v_lshlrev_b32_e32 v44, 1, v36
	v_lshl_add_u64 v[70:71], v[44:45], 3, s[8:9]
	global_load_dwordx4 v[70:73], v[70:71], off offset:2280
	v_lshlrev_b32_e32 v44, 1, v34
	s_mov_b32 s2, 0x3f5db3d7
	s_waitcnt vmcnt(2) lgkmcnt(8)
	v_pk_mul_f32 v[74:75], v[62:63], v[18:19] op_sel:[0,1]
	s_waitcnt lgkmcnt(6)
	v_pk_mul_f32 v[76:77], v[64:65], v[12:13] op_sel:[0,1]
	v_pk_fma_f32 v[78:79], v[62:63], v[18:19], v[74:75] op_sel:[0,0,1] op_sel_hi:[1,1,0]
	v_pk_fma_f32 v[18:19], v[62:63], v[18:19], v[74:75] op_sel:[0,0,1] op_sel_hi:[1,0,0] neg_lo:[1,0,0] neg_hi:[1,0,0]
	v_pk_fma_f32 v[62:63], v[64:65], v[12:13], v[76:77] op_sel:[0,0,1] op_sel_hi:[1,1,0]
	v_pk_fma_f32 v[64:65], v[64:65], v[12:13], v[76:77] op_sel:[0,0,1] op_sel_hi:[1,0,0] neg_lo:[1,0,0] neg_hi:[1,0,0]
	s_waitcnt vmcnt(1)
	v_pk_mul_f32 v[12:13], v[66:67], v[16:17] op_sel:[0,1]
	v_mov_b32_e32 v79, v19
	v_pk_fma_f32 v[74:75], v[66:67], v[16:17], v[12:13] op_sel:[0,0,1] op_sel_hi:[1,1,0]
	v_pk_fma_f32 v[16:17], v[66:67], v[16:17], v[12:13] op_sel:[0,0,1] op_sel_hi:[1,0,0] neg_lo:[1,0,0] neg_hi:[1,0,0]
	v_pk_mul_f32 v[12:13], v[68:69], v[2:3] op_sel:[0,1]
	v_mov_b32_e32 v63, v65
	v_pk_fma_f32 v[66:67], v[68:69], v[2:3], v[12:13] op_sel:[0,0,1] op_sel_hi:[1,1,0]
	v_pk_fma_f32 v[2:3], v[68:69], v[2:3], v[12:13] op_sel:[0,0,1] op_sel_hi:[1,0,0] neg_lo:[1,0,0] neg_hi:[1,0,0]
	s_waitcnt vmcnt(0)
	v_pk_mul_f32 v[12:13], v[72:73], v[14:15] op_sel:[0,1]
	v_mov_b32_e32 v75, v17
	v_pk_fma_f32 v[68:69], v[72:73], v[14:15], v[12:13] op_sel:[0,0,1] op_sel_hi:[1,1,0]
	v_pk_fma_f32 v[72:73], v[72:73], v[14:15], v[12:13] op_sel:[0,0,1] op_sel_hi:[1,0,0] neg_lo:[1,0,0] neg_hi:[1,0,0]
	s_waitcnt lgkmcnt(5)
	v_pk_mul_f32 v[12:13], v[70:71], v[8:9] op_sel:[0,1]
	v_mov_b32_e32 v67, v3
	v_pk_fma_f32 v[76:77], v[70:71], v[8:9], v[12:13] op_sel:[0,0,1] op_sel_hi:[1,1,0]
	v_pk_fma_f32 v[70:71], v[70:71], v[8:9], v[12:13] op_sel:[0,0,1] op_sel_hi:[1,0,0] neg_lo:[1,0,0] neg_hi:[1,0,0]
	v_lshl_add_u64 v[8:9], v[44:45], 3, s[8:9]
	global_load_dwordx4 v[12:15], v[8:9], off offset:2280
	v_lshlrev_b32_e32 v44, 1, v32
	v_pk_add_f32 v[18:19], v[74:75], v[66:67] neg_lo:[0,1] neg_hi:[0,1]
	v_mov_b32_e32 v77, v71
	v_pk_add_f32 v[64:65], v[78:79], v[62:63]
	v_pk_add_f32 v[70:71], v[78:79], v[62:63] neg_lo:[0,1] neg_hi:[0,1]
	v_mov_b32_e32 v69, v73
	v_pk_mul_f32 v[18:19], v[18:19], s[2:3] op_sel_hi:[1,0]
	s_waitcnt vmcnt(0)
	v_pk_mul_f32 v[8:9], v[12:13], v[10:11] op_sel:[0,1]
	s_nop 0
	v_pk_fma_f32 v[80:81], v[12:13], v[10:11], v[8:9] op_sel:[0,0,1] op_sel_hi:[1,1,0]
	v_pk_fma_f32 v[12:13], v[12:13], v[10:11], v[8:9] op_sel:[0,0,1] op_sel_hi:[1,0,0] neg_lo:[1,0,0] neg_hi:[1,0,0]
	v_lshl_add_u64 v[8:9], v[44:45], 3, s[8:9]
	global_load_dwordx4 v[8:11], v[8:9], off offset:2280
	v_mov_b32_e32 v2, v15
	s_waitcnt lgkmcnt(2)
	v_pk_mul_f32 v[2:3], v[4:5], v[2:3] op_sel_hi:[1,0]
	v_mov_b32_e32 v81, v13
	v_pk_fma_f32 v[16:17], v[4:5], v[14:15], v[2:3] op_sel:[0,0,1] op_sel_hi:[1,1,0]
	v_pk_fma_f32 v[2:3], v[4:5], v[14:15], v[2:3] op_sel:[0,0,1] op_sel_hi:[1,0,0] neg_lo:[0,0,1] neg_hi:[0,0,1]
	v_pk_add_f32 v[14:15], v[50:51], v[74:75]
	v_pk_add_f32 v[12:13], v[74:75], v[66:67]
	s_waitcnt lgkmcnt(1)
	v_pk_add_f32 v[4:5], v[52:53], v[78:79]
	v_pk_add_f32 v[14:15], v[14:15], v[66:67]
	v_pk_fma_f32 v[12:13], v[12:13], 0.5, v[50:51] op_sel_hi:[1,0,1] neg_lo:[1,0,0] neg_hi:[1,0,0]
	v_pk_fma_f32 v[50:51], v[64:65], 0.5, v[52:53] op_sel_hi:[1,0,1] neg_lo:[1,0,0] neg_hi:[1,0,0]
	v_pk_mul_f32 v[52:53], v[70:71], s[2:3] op_sel_hi:[1,0]
	s_waitcnt lgkmcnt(0)
	; wave barrier
	s_waitcnt lgkmcnt(0)
	ds_write_b64 v60, v[14:15]
	v_pk_add_f32 v[14:15], v[12:13], v[18:19] op_sel:[0,1] op_sel_hi:[1,0] neg_lo:[0,1] neg_hi:[0,1]
	v_pk_add_f32 v[12:13], v[12:13], v[18:19] op_sel:[0,1] op_sel_hi:[1,0]
	v_pk_add_f32 v[18:19], v[50:51], v[52:53] op_sel:[0,1] op_sel_hi:[1,0] neg_lo:[0,1] neg_hi:[0,1]
	v_pk_add_f32 v[50:51], v[50:51], v[52:53] op_sel:[0,1] op_sel_hi:[1,0]
	v_pk_add_f32 v[52:53], v[76:77], v[68:69]
	v_pk_add_f32 v[64:65], v[76:77], v[68:69] neg_lo:[0,1] neg_hi:[0,1]
	v_pk_add_f32 v[4:5], v[4:5], v[62:63]
	v_pk_add_f32 v[62:63], v[48:49], v[76:77]
	v_mov_b32_e32 v66, v14
	v_mov_b32_e32 v67, v13
	;; [unrolled: 1-line block ×6, first 2 shown]
	v_pk_fma_f32 v[18:19], v[52:53], 0.5, v[48:49] op_sel_hi:[1,0,1] neg_lo:[1,0,0] neg_hi:[1,0,0]
	v_pk_mul_f32 v[48:49], v[64:65], s[2:3] op_sel_hi:[1,0]
	v_mov_b32_e32 v17, v3
	v_pk_add_f32 v[2:3], v[46:47], v[80:81]
	v_pk_add_f32 v[62:63], v[62:63], v[68:69]
	ds_write_b64 v60, v[66:67] offset:2304
	ds_write_b64 v60, v[12:13] offset:4608
	ds_write_b64 v58, v[4:5]
	ds_write_b64 v58, v[14:15] offset:2304
	ds_write_b64 v58, v[50:51] offset:4608
	ds_write_b64 v57, v[62:63]
	v_pk_add_f32 v[4:5], v[18:19], v[48:49] op_sel:[0,1] op_sel_hi:[1,0] neg_lo:[0,1] neg_hi:[0,1]
	v_pk_add_f32 v[12:13], v[18:19], v[48:49] op_sel:[0,1] op_sel_hi:[1,0]
	v_pk_add_f32 v[2:3], v[2:3], v[16:17]
	v_mov_b32_e32 v14, v4
	v_mov_b32_e32 v15, v13
	;; [unrolled: 1-line block ×3, first 2 shown]
	ds_write_b64 v57, v[14:15] offset:2304
	ds_write_b64 v57, v[12:13] offset:4608
	ds_write_b64 v56, v[2:3]
	v_pk_add_f32 v[2:3], v[80:81], v[16:17]
	v_pk_add_f32 v[4:5], v[80:81], v[16:17] neg_lo:[0,1] neg_hi:[0,1]
	v_pk_fma_f32 v[2:3], v[2:3], 0.5, v[46:47] op_sel_hi:[1,0,1] neg_lo:[1,0,0] neg_hi:[1,0,0]
	v_pk_mul_f32 v[4:5], v[4:5], s[2:3] op_sel_hi:[1,0]
	s_nop 0
	v_pk_add_f32 v[12:13], v[2:3], v[4:5] op_sel:[0,1] op_sel_hi:[1,0] neg_lo:[0,1] neg_hi:[0,1]
	v_pk_add_f32 v[2:3], v[2:3], v[4:5] op_sel:[0,1] op_sel_hi:[1,0]
	v_mov_b32_e32 v4, v12
	v_mov_b32_e32 v5, v3
	;; [unrolled: 1-line block ×3, first 2 shown]
	ds_write_b64 v56, v[2:3] offset:4608
	ds_write_b64 v56, v[4:5] offset:2304
	s_waitcnt vmcnt(0)
	v_pk_mul_f32 v[2:3], v[0:1], v[8:9] op_sel:[0,1]
	s_nop 0
	v_pk_fma_f32 v[4:5], v[0:1], v[8:9], v[2:3] op_sel:[0,0,1] op_sel_hi:[1,1,0]
	v_pk_fma_f32 v[0:1], v[0:1], v[8:9], v[2:3] op_sel:[0,0,1] op_sel_hi:[1,0,0] neg_lo:[0,0,1] neg_hi:[0,0,1]
	s_nop 0
	v_mov_b32_e32 v0, v11
	v_mov_b32_e32 v5, v1
	v_pk_mul_f32 v[0:1], v[6:7], v[0:1] op_sel_hi:[1,0]
	s_nop 0
	v_pk_fma_f32 v[2:3], v[6:7], v[10:11], v[0:1] op_sel:[0,0,1] op_sel_hi:[1,1,0]
	v_pk_fma_f32 v[0:1], v[6:7], v[10:11], v[0:1] op_sel:[0,0,1] op_sel_hi:[1,0,0] neg_lo:[0,0,1] neg_hi:[0,0,1]
	s_nop 0
	v_mov_b32_e32 v3, v1
	v_pk_add_f32 v[0:1], v[42:43], v[4:5]
	s_nop 0
	v_pk_add_f32 v[0:1], v[0:1], v[2:3]
	ds_write_b64 v55, v[0:1]
	v_pk_add_f32 v[0:1], v[4:5], v[2:3]
	v_pk_add_f32 v[2:3], v[4:5], v[2:3] neg_lo:[0,1] neg_hi:[0,1]
	v_pk_fma_f32 v[0:1], v[0:1], 0.5, v[42:43] op_sel_hi:[1,0,1] neg_lo:[1,0,0] neg_hi:[1,0,0]
	v_pk_mul_f32 v[2:3], v[2:3], s[2:3] op_sel_hi:[1,0]
	s_nop 0
	v_pk_add_f32 v[4:5], v[0:1], v[2:3] op_sel:[0,1] op_sel_hi:[1,0] neg_lo:[0,1] neg_hi:[0,1]
	v_pk_add_f32 v[0:1], v[0:1], v[2:3] op_sel:[0,1] op_sel_hi:[1,0]
	v_mov_b32_e32 v2, v4
	v_mov_b32_e32 v3, v1
	;; [unrolled: 1-line block ×3, first 2 shown]
	ds_write_b64 v55, v[2:3] offset:2304
	ds_write_b64 v55, v[0:1] offset:4608
	s_and_saveexec_b64 s[4:5], vcc
	s_cbranch_execz .LBB0_25
; %bb.24:
	v_subrev_u32_e32 v0, 18, v24
	v_cndmask_b32_e32 v0, v0, v30, vcc
	v_lshlrev_b32_e32 v44, 1, v0
	v_lshl_add_u64 v[0:1], v[44:45], 3, s[8:9]
	global_load_dwordx4 v[0:3], v[0:1], off offset:2280
	v_mov_b32_e32 v4, v21
	v_mov_b32_e32 v39, v41
	s_waitcnt vmcnt(0)
	v_pk_mul_f32 v[4:5], v[4:5], v[0:1] op_sel_hi:[0,1]
	v_pk_mul_f32 v[6:7], v[22:23], v[2:3] op_sel:[1,0]
	v_pk_fma_f32 v[8:9], v[20:21], v[0:1], v[4:5] op_sel:[0,0,1] op_sel_hi:[1,1,0]
	v_pk_fma_f32 v[0:1], v[20:21], v[0:1], v[4:5] op_sel:[0,0,1] op_sel_hi:[0,1,0] neg_lo:[1,0,0] neg_hi:[1,0,0]
	v_pk_fma_f32 v[4:5], v[22:23], v[2:3], v[6:7] op_sel:[0,0,1] op_sel_hi:[1,1,0]
	v_pk_fma_f32 v[2:3], v[22:23], v[2:3], v[6:7] op_sel:[0,0,1] op_sel_hi:[0,1,0] neg_lo:[1,0,0] neg_hi:[1,0,0]
	v_mov_b32_e32 v9, v1
	v_mov_b32_e32 v5, v3
	v_pk_add_f32 v[0:1], v[38:39], v[8:9]
	v_pk_add_f32 v[2:3], v[8:9], v[4:5]
	v_pk_add_f32 v[6:7], v[8:9], v[4:5] neg_lo:[0,1] neg_hi:[0,1]
	v_pk_add_f32 v[0:1], v[0:1], v[4:5]
	v_pk_fma_f32 v[2:3], -0.5, v[2:3], v[38:39] op_sel_hi:[0,1,1]
	v_pk_mul_f32 v[4:5], v[6:7], s[2:3] op_sel_hi:[1,0]
	ds_write_b64 v60, v[0:1] offset:2160
	v_pk_add_f32 v[0:1], v[2:3], v[4:5] op_sel:[0,1] op_sel_hi:[1,0] neg_lo:[0,1] neg_hi:[0,1]
	v_pk_add_f32 v[2:3], v[2:3], v[4:5] op_sel:[0,1] op_sel_hi:[1,0]
	v_mov_b32_e32 v4, v0
	v_mov_b32_e32 v5, v3
	;; [unrolled: 1-line block ×3, first 2 shown]
	ds_write_b64 v60, v[4:5] offset:4464
	ds_write_b64 v60, v[2:3] offset:6768
.LBB0_25:
	s_or_b64 exec, exec, s[4:5]
	s_waitcnt lgkmcnt(0)
	; wave barrier
	s_waitcnt lgkmcnt(0)
	ds_read_b64 v[6:7], v60
	s_add_u32 s2, s8, 0x1ae8
	v_lshlrev_b32_e32 v0, 3, v24
	s_addc_u32 s3, s9, 0
	v_sub_u32_e32 v8, 0, v0
	v_cmp_ne_u32_e32 vcc, 0, v24
                                        ; implicit-def: $vgpr5
                                        ; implicit-def: $vgpr2_vgpr3
                                        ; implicit-def: $vgpr0_vgpr1
	s_and_saveexec_b64 s[4:5], vcc
	s_xor_b64 s[4:5], exec, s[4:5]
	s_cbranch_execz .LBB0_27
; %bb.26:
	v_mov_b32_e32 v25, 0
	v_lshl_add_u64 v[0:1], v[24:25], 3, s[2:3]
	global_load_dwordx2 v[0:1], v[0:1], off
	ds_read_b64 v[2:3], v8 offset:6912
	v_mov_b32_e32 v5, 0.5
	v_mov_b32_e32 v10, v5
	s_waitcnt lgkmcnt(0)
	v_pk_add_f32 v[12:13], v[2:3], v[6:7]
	v_pk_add_f32 v[2:3], v[6:7], v[2:3] neg_lo:[0,1] neg_hi:[0,1]
	v_mov_b32_e32 v6, v13
	v_mov_b32_e32 v7, v2
	v_pk_mul_f32 v[6:7], v[6:7], 0.5 op_sel_hi:[1,0]
	s_waitcnt vmcnt(0)
	v_mov_b32_e32 v4, v1
	v_mov_b32_e32 v2, v7
	;; [unrolled: 1-line block ×4, first 2 shown]
	v_pk_mul_f32 v[2:3], v[4:5], v[2:3]
	v_pk_mul_f32 v[14:15], v[0:1], v[6:7] op_sel_hi:[0,1]
	v_pk_fma_f32 v[16:17], v[12:13], v[10:11], v[2:3]
	v_pk_fma_f32 v[2:3], v[12:13], v[10:11], v[2:3] neg_lo:[0,0,1] neg_hi:[0,0,1]
	v_pk_fma_f32 v[4:5], v[0:1], v[6:7], v[16:17] op_sel_hi:[0,1,1] neg_lo:[1,0,0] neg_hi:[1,0,0]
	v_pk_fma_f32 v[2:3], v[0:1], v[6:7], v[2:3] op_sel_hi:[0,1,1] neg_lo:[1,0,0] neg_hi:[1,0,0]
	v_add_f32_e32 v4, v16, v14
	v_mov_b64_e32 v[0:1], v[24:25]
                                        ; implicit-def: $vgpr6_vgpr7
.LBB0_27:
	s_andn2_saveexec_b64 s[4:5], s[4:5]
	s_cbranch_execz .LBB0_29
; %bb.28:
	s_waitcnt lgkmcnt(0)
	v_mov_b32_e32 v0, v7
	v_pk_add_f32 v[2:3], v[6:7], v[0:1] neg_lo:[0,1] neg_hi:[0,1]
	v_add_f32_e32 v4, v7, v6
	v_mov_b32_e32 v3, 0
	ds_read_b32 v5, v3 offset:3460
	v_mov_b64_e32 v[0:1], 0
	s_waitcnt lgkmcnt(0)
	v_xor_b32_e32 v5, 0x80000000, v5
	ds_write_b32 v3, v5 offset:3460
	v_mov_b32_e32 v5, v3
.LBB0_29:
	s_or_b64 exec, exec, s[4:5]
	v_mov_b32_e32 v29, 0
	s_waitcnt lgkmcnt(0)
	v_lshl_add_u64 v[6:7], v[28:29], 3, s[2:3]
	global_load_dwordx2 v[6:7], v[6:7], off
	v_mov_b32_e32 v37, v29
	v_lshl_add_u64 v[10:11], v[36:37], 3, s[2:3]
	global_load_dwordx2 v[10:11], v[10:11], off
	v_mov_b32_e32 v35, v29
	;; [unrolled: 3-line block ×4, first 2 shown]
	ds_write_b64 v60, v[4:5]
	ds_write_b64 v8, v[2:3] offset:6912
	v_lshl_add_u64 v[22:23], v[30:31], 3, s[2:3]
	ds_read_b64 v[16:17], v58
	ds_read_b64 v[18:19], v8 offset:6480
	global_load_dwordx2 v[22:23], v[22:23], off
	v_mov_b32_e32 v3, 0.5
	v_mov_b32_e32 v20, v3
	v_lshl_add_u64 v[4:5], v[0:1], 3, s[2:3]
	s_waitcnt lgkmcnt(0)
	v_pk_add_f32 v[28:29], v[16:17], v[18:19]
	v_pk_add_f32 v[16:17], v[16:17], v[18:19] neg_lo:[0,1] neg_hi:[0,1]
	v_mov_b32_e32 v18, v29
	v_mov_b32_e32 v19, v16
	v_pk_mul_f32 v[18:19], v[18:19], 0.5 op_sel_hi:[1,0]
	s_waitcnt vmcnt(4)
	v_mov_b32_e32 v21, v7
	v_mov_b32_e32 v29, v18
	;; [unrolled: 1-line block ×4, first 2 shown]
	v_pk_mul_f32 v[20:21], v[28:29], v[20:21]
	s_nop 0
	v_pk_fma_f32 v[28:29], v[2:3], v[16:17], v[20:21] neg_lo:[1,0,0] neg_hi:[1,0,0]
	v_pk_fma_f32 v[16:17], v[2:3], v[16:17], v[20:21]
	v_pk_fma_f32 v[20:21], v[6:7], v[18:19], v[28:29] op_sel_hi:[0,1,1] neg_lo:[1,0,0] neg_hi:[1,0,0]
	v_pk_fma_f32 v[28:29], v[6:7], v[18:19], v[16:17] op_sel_hi:[0,1,1]
	v_pk_fma_f32 v[6:7], v[6:7], v[18:19], v[16:17] op_sel_hi:[0,1,1] neg_lo:[1,0,0] neg_hi:[1,0,0]
	v_mov_b32_e32 v29, v7
	ds_write_b64 v58, v[28:29]
	ds_write_b64 v8, v[20:21] offset:6480
	ds_read_b64 v[6:7], v57
	ds_read_b64 v[16:17], v8 offset:6048
	global_load_dwordx2 v[20:21], v[4:5], off offset:2592
	v_mov_b32_e32 v18, v3
	s_waitcnt vmcnt(4)
	v_mov_b32_e32 v19, v11
	v_mov_b32_e32 v2, v11
	s_waitcnt lgkmcnt(0)
	v_pk_add_f32 v[28:29], v[6:7], v[16:17]
	v_pk_add_f32 v[6:7], v[6:7], v[16:17] neg_lo:[0,1] neg_hi:[0,1]
	v_mov_b32_e32 v16, v29
	v_mov_b32_e32 v17, v6
	v_pk_mul_f32 v[16:17], v[16:17], 0.5 op_sel_hi:[1,0]
	s_nop 0
	v_mov_b32_e32 v29, v16
	v_mov_b32_e32 v6, v17
	v_pk_mul_f32 v[18:19], v[28:29], v[18:19]
	s_nop 0
	v_pk_fma_f32 v[28:29], v[2:3], v[6:7], v[18:19] neg_lo:[1,0,0] neg_hi:[1,0,0]
	v_pk_fma_f32 v[6:7], v[2:3], v[6:7], v[18:19]
	v_pk_fma_f32 v[18:19], v[10:11], v[16:17], v[28:29] op_sel_hi:[0,1,1] neg_lo:[1,0,0] neg_hi:[1,0,0]
	v_pk_fma_f32 v[28:29], v[10:11], v[16:17], v[6:7] op_sel_hi:[0,1,1]
	v_pk_fma_f32 v[6:7], v[10:11], v[16:17], v[6:7] op_sel_hi:[0,1,1] neg_lo:[1,0,0] neg_hi:[1,0,0]
	v_mov_b32_e32 v29, v7
	ds_write_b64 v57, v[28:29]
	ds_write_b64 v8, v[18:19] offset:6048
	ds_read_b64 v[6:7], v56
	ds_read_b64 v[10:11], v8 offset:5616
	global_load_dwordx2 v[4:5], v[4:5], off offset:3024
	v_mov_b32_e32 v16, v3
	s_waitcnt vmcnt(4)
	v_mov_b32_e32 v17, v13
	v_mov_b32_e32 v2, v13
	s_waitcnt lgkmcnt(0)
	v_pk_add_f32 v[18:19], v[6:7], v[10:11]
	v_pk_add_f32 v[6:7], v[6:7], v[10:11] neg_lo:[0,1] neg_hi:[0,1]
	v_mov_b32_e32 v10, v19
	v_mov_b32_e32 v11, v6
	v_pk_mul_f32 v[10:11], v[10:11], 0.5 op_sel_hi:[1,0]
	s_nop 0
	v_mov_b32_e32 v19, v10
	v_mov_b32_e32 v6, v11
	v_pk_mul_f32 v[16:17], v[18:19], v[16:17]
	s_nop 0
	v_pk_fma_f32 v[18:19], v[2:3], v[6:7], v[16:17] neg_lo:[1,0,0] neg_hi:[1,0,0]
	v_pk_fma_f32 v[6:7], v[2:3], v[6:7], v[16:17]
	v_pk_fma_f32 v[16:17], v[12:13], v[10:11], v[18:19] op_sel_hi:[0,1,1] neg_lo:[1,0,0] neg_hi:[1,0,0]
	v_pk_fma_f32 v[18:19], v[12:13], v[10:11], v[6:7] op_sel_hi:[0,1,1]
	v_pk_fma_f32 v[6:7], v[12:13], v[10:11], v[6:7] op_sel_hi:[0,1,1] neg_lo:[1,0,0] neg_hi:[1,0,0]
	v_mov_b32_e32 v19, v7
	ds_write_b64 v56, v[18:19]
	ds_write_b64 v8, v[16:17] offset:5616
	ds_read_b64 v[6:7], v55
	ds_read_b64 v[10:11], v8 offset:5184
	v_mov_b32_e32 v12, v3
	s_waitcnt vmcnt(3)
	v_mov_b32_e32 v13, v15
	v_mov_b32_e32 v2, v15
	s_waitcnt lgkmcnt(0)
	v_pk_add_f32 v[16:17], v[6:7], v[10:11]
	v_pk_add_f32 v[6:7], v[6:7], v[10:11] neg_lo:[0,1] neg_hi:[0,1]
	v_mov_b32_e32 v10, v17
	v_mov_b32_e32 v11, v6
	v_pk_mul_f32 v[10:11], v[10:11], 0.5 op_sel_hi:[1,0]
	s_nop 0
	v_mov_b32_e32 v17, v10
	v_mov_b32_e32 v6, v11
	v_pk_mul_f32 v[12:13], v[16:17], v[12:13]
	s_nop 0
	v_pk_fma_f32 v[16:17], v[2:3], v[6:7], v[12:13] neg_lo:[1,0,0] neg_hi:[1,0,0]
	v_pk_fma_f32 v[6:7], v[2:3], v[6:7], v[12:13]
	v_pk_fma_f32 v[12:13], v[14:15], v[10:11], v[16:17] op_sel_hi:[0,1,1] neg_lo:[1,0,0] neg_hi:[1,0,0]
	v_pk_fma_f32 v[16:17], v[14:15], v[10:11], v[6:7] op_sel_hi:[0,1,1]
	v_pk_fma_f32 v[6:7], v[14:15], v[10:11], v[6:7] op_sel_hi:[0,1,1] neg_lo:[1,0,0] neg_hi:[1,0,0]
	v_mov_b32_e32 v17, v7
	ds_write_b64 v55, v[16:17]
	ds_write_b64 v8, v[12:13] offset:5184
	ds_read_b64 v[6:7], v54
	ds_read_b64 v[10:11], v8 offset:4752
	v_mov_b32_e32 v12, v3
	s_waitcnt vmcnt(2)
	v_mov_b32_e32 v13, v23
	v_mov_b32_e32 v2, v23
	s_waitcnt lgkmcnt(0)
	v_pk_add_f32 v[14:15], v[6:7], v[10:11]
	v_pk_add_f32 v[6:7], v[6:7], v[10:11] neg_lo:[0,1] neg_hi:[0,1]
	v_mov_b32_e32 v10, v15
	v_mov_b32_e32 v11, v6
	v_pk_mul_f32 v[10:11], v[10:11], 0.5 op_sel_hi:[1,0]
	s_nop 0
	v_mov_b32_e32 v15, v10
	v_mov_b32_e32 v6, v11
	v_pk_mul_f32 v[12:13], v[14:15], v[12:13]
	s_nop 0
	v_pk_fma_f32 v[14:15], v[2:3], v[6:7], v[12:13] neg_lo:[1,0,0] neg_hi:[1,0,0]
	v_pk_fma_f32 v[6:7], v[2:3], v[6:7], v[12:13]
	v_pk_fma_f32 v[12:13], v[22:23], v[10:11], v[14:15] op_sel_hi:[0,1,1] neg_lo:[1,0,0] neg_hi:[1,0,0]
	v_pk_fma_f32 v[14:15], v[22:23], v[10:11], v[6:7] op_sel_hi:[0,1,1]
	v_pk_fma_f32 v[6:7], v[22:23], v[10:11], v[6:7] op_sel_hi:[0,1,1] neg_lo:[1,0,0] neg_hi:[1,0,0]
	v_mov_b32_e32 v15, v7
	ds_write_b64 v54, v[14:15]
	ds_write_b64 v8, v[12:13] offset:4752
	ds_read_b64 v[6:7], v60 offset:2592
	ds_read_b64 v[10:11], v8 offset:4320
	v_mov_b32_e32 v12, v3
	s_waitcnt vmcnt(1)
	v_mov_b32_e32 v13, v21
	v_mov_b32_e32 v2, v21
	s_waitcnt lgkmcnt(0)
	v_pk_add_f32 v[14:15], v[6:7], v[10:11]
	v_pk_add_f32 v[6:7], v[6:7], v[10:11] neg_lo:[0,1] neg_hi:[0,1]
	v_mov_b32_e32 v10, v15
	v_mov_b32_e32 v11, v6
	v_pk_mul_f32 v[10:11], v[10:11], 0.5 op_sel_hi:[1,0]
	s_nop 0
	v_mov_b32_e32 v15, v10
	v_mov_b32_e32 v6, v11
	v_pk_mul_f32 v[12:13], v[14:15], v[12:13]
	s_nop 0
	v_pk_fma_f32 v[14:15], v[2:3], v[6:7], v[12:13] neg_lo:[1,0,0] neg_hi:[1,0,0]
	v_pk_fma_f32 v[6:7], v[2:3], v[6:7], v[12:13]
	v_pk_fma_f32 v[12:13], v[20:21], v[10:11], v[14:15] op_sel_hi:[0,1,1] neg_lo:[1,0,0] neg_hi:[1,0,0]
	v_pk_fma_f32 v[14:15], v[20:21], v[10:11], v[6:7] op_sel_hi:[0,1,1]
	v_pk_fma_f32 v[6:7], v[20:21], v[10:11], v[6:7] op_sel_hi:[0,1,1] neg_lo:[1,0,0] neg_hi:[1,0,0]
	v_mov_b32_e32 v15, v7
	ds_write_b64 v60, v[14:15] offset:2592
	ds_write_b64 v8, v[12:13] offset:4320
	ds_read_b64 v[6:7], v60 offset:3024
	ds_read_b64 v[10:11], v8 offset:3888
	v_mov_b32_e32 v12, v3
	s_waitcnt vmcnt(0)
	v_mov_b32_e32 v13, v5
	v_mov_b32_e32 v2, v5
	s_waitcnt lgkmcnt(0)
	v_pk_add_f32 v[14:15], v[6:7], v[10:11]
	v_pk_add_f32 v[6:7], v[6:7], v[10:11] neg_lo:[0,1] neg_hi:[0,1]
	v_mov_b32_e32 v10, v15
	v_mov_b32_e32 v11, v6
	v_pk_mul_f32 v[10:11], v[10:11], 0.5 op_sel_hi:[1,0]
	s_nop 0
	v_mov_b32_e32 v15, v10
	v_mov_b32_e32 v6, v11
	v_pk_mul_f32 v[12:13], v[14:15], v[12:13]
	s_nop 0
	v_pk_fma_f32 v[14:15], v[2:3], v[6:7], v[12:13] neg_lo:[1,0,0] neg_hi:[1,0,0]
	v_pk_fma_f32 v[2:3], v[2:3], v[6:7], v[12:13]
	v_pk_fma_f32 v[6:7], v[4:5], v[10:11], v[14:15] op_sel_hi:[0,1,1] neg_lo:[1,0,0] neg_hi:[1,0,0]
	v_pk_fma_f32 v[12:13], v[4:5], v[10:11], v[2:3] op_sel_hi:[0,1,1]
	v_pk_fma_f32 v[2:3], v[4:5], v[10:11], v[2:3] op_sel_hi:[0,1,1] neg_lo:[1,0,0] neg_hi:[1,0,0]
	v_mov_b32_e32 v13, v3
	ds_write_b64 v60, v[12:13] offset:3024
	ds_write_b64 v8, v[6:7] offset:3888
	s_waitcnt lgkmcnt(0)
	; wave barrier
	s_waitcnt lgkmcnt(0)
	s_and_saveexec_b64 s[2:3], s[0:1]
	s_cbranch_execz .LBB0_32
; %bb.30:
	ds_read2_b64 v[2:5], v60 offset1:54
	ds_read2_b64 v[6:9], v60 offset0:108 offset1:162
	v_lshl_add_u64 v[12:13], v[0:1], 3, v[26:27]
	v_add_u32_e32 v0, 0x400, v60
	v_add_u32_e32 v10, 0x800, v60
	s_movk_i32 s0, 0x1000
	s_waitcnt lgkmcnt(1)
	global_store_dwordx2 v[12:13], v[2:3], off
	global_store_dwordx2 v[12:13], v[4:5], off offset:432
	s_waitcnt lgkmcnt(0)
	global_store_dwordx2 v[12:13], v[6:7], off offset:864
	ds_read2_b64 v[0:3], v0 offset0:88 offset1:142
	ds_read2_b64 v[4:7], v10 offset0:68 offset1:122
	global_store_dwordx2 v[12:13], v[8:9], off offset:1296
	ds_read2_b64 v[8:11], v10 offset0:176 offset1:230
	s_waitcnt lgkmcnt(2)
	global_store_dwordx2 v[12:13], v[0:1], off offset:1728
	global_store_dwordx2 v[12:13], v[2:3], off offset:2160
	s_waitcnt lgkmcnt(1)
	global_store_dwordx2 v[12:13], v[4:5], off offset:2592
	global_store_dwordx2 v[12:13], v[6:7], off offset:3024
	;; [unrolled: 3-line block ×3, first 2 shown]
	v_add_u32_e32 v4, 0x1000, v60
	ds_read2_b64 v[0:3], v4 offset0:28 offset1:82
	v_add_co_u32_e32 v12, vcc, s0, v12
	ds_read2_b64 v[4:7], v4 offset0:136 offset1:190
	s_nop 0
	v_addc_co_u32_e32 v13, vcc, 0, v13, vcc
	v_add_u32_e32 v8, 0x1400, v60
	ds_read2_b64 v[8:11], v8 offset0:116 offset1:170
	v_cmp_eq_u32_e32 vcc, 53, v24
	s_waitcnt lgkmcnt(2)
	global_store_dwordx2 v[12:13], v[0:1], off offset:224
	global_store_dwordx2 v[12:13], v[2:3], off offset:656
	s_waitcnt lgkmcnt(1)
	global_store_dwordx2 v[12:13], v[4:5], off offset:1088
	global_store_dwordx2 v[12:13], v[6:7], off offset:1520
	;; [unrolled: 3-line block ×3, first 2 shown]
	s_and_b64 exec, exec, vcc
	s_cbranch_execz .LBB0_32
; %bb.31:
	v_mov_b32_e32 v0, 0
	ds_read_b64 v[0:1], v0 offset:6912
	v_add_co_u32_e32 v2, vcc, 0x1000, v26
	s_nop 1
	v_addc_co_u32_e32 v3, vcc, 0, v27, vcc
	s_waitcnt lgkmcnt(0)
	global_store_dwordx2 v[2:3], v[0:1], off offset:2816
.LBB0_32:
	s_endpgm
	.section	.rodata,"a",@progbits
	.p2align	6, 0x0
	.amdhsa_kernel fft_rtc_back_len864_factors_3_6_16_3_wgs_54_tpt_54_halfLds_sp_ip_CI_unitstride_sbrr_R2C_dirReg
		.amdhsa_group_segment_fixed_size 0
		.amdhsa_private_segment_fixed_size 0
		.amdhsa_kernarg_size 88
		.amdhsa_user_sgpr_count 2
		.amdhsa_user_sgpr_dispatch_ptr 0
		.amdhsa_user_sgpr_queue_ptr 0
		.amdhsa_user_sgpr_kernarg_segment_ptr 1
		.amdhsa_user_sgpr_dispatch_id 0
		.amdhsa_user_sgpr_kernarg_preload_length 0
		.amdhsa_user_sgpr_kernarg_preload_offset 0
		.amdhsa_user_sgpr_private_segment_size 0
		.amdhsa_uses_dynamic_stack 0
		.amdhsa_enable_private_segment 0
		.amdhsa_system_sgpr_workgroup_id_x 1
		.amdhsa_system_sgpr_workgroup_id_y 0
		.amdhsa_system_sgpr_workgroup_id_z 0
		.amdhsa_system_sgpr_workgroup_info 0
		.amdhsa_system_vgpr_workitem_id 0
		.amdhsa_next_free_vgpr 90
		.amdhsa_next_free_sgpr 22
		.amdhsa_accum_offset 92
		.amdhsa_reserve_vcc 1
		.amdhsa_float_round_mode_32 0
		.amdhsa_float_round_mode_16_64 0
		.amdhsa_float_denorm_mode_32 3
		.amdhsa_float_denorm_mode_16_64 3
		.amdhsa_dx10_clamp 1
		.amdhsa_ieee_mode 1
		.amdhsa_fp16_overflow 0
		.amdhsa_tg_split 0
		.amdhsa_exception_fp_ieee_invalid_op 0
		.amdhsa_exception_fp_denorm_src 0
		.amdhsa_exception_fp_ieee_div_zero 0
		.amdhsa_exception_fp_ieee_overflow 0
		.amdhsa_exception_fp_ieee_underflow 0
		.amdhsa_exception_fp_ieee_inexact 0
		.amdhsa_exception_int_div_zero 0
	.end_amdhsa_kernel
	.text
.Lfunc_end0:
	.size	fft_rtc_back_len864_factors_3_6_16_3_wgs_54_tpt_54_halfLds_sp_ip_CI_unitstride_sbrr_R2C_dirReg, .Lfunc_end0-fft_rtc_back_len864_factors_3_6_16_3_wgs_54_tpt_54_halfLds_sp_ip_CI_unitstride_sbrr_R2C_dirReg
                                        ; -- End function
	.section	.AMDGPU.csdata,"",@progbits
; Kernel info:
; codeLenInByte = 9272
; NumSgprs: 28
; NumVgprs: 90
; NumAgprs: 0
; TotalNumVgprs: 90
; ScratchSize: 0
; MemoryBound: 0
; FloatMode: 240
; IeeeMode: 1
; LDSByteSize: 0 bytes/workgroup (compile time only)
; SGPRBlocks: 3
; VGPRBlocks: 11
; NumSGPRsForWavesPerEU: 28
; NumVGPRsForWavesPerEU: 90
; AccumOffset: 92
; Occupancy: 5
; WaveLimiterHint : 1
; COMPUTE_PGM_RSRC2:SCRATCH_EN: 0
; COMPUTE_PGM_RSRC2:USER_SGPR: 2
; COMPUTE_PGM_RSRC2:TRAP_HANDLER: 0
; COMPUTE_PGM_RSRC2:TGID_X_EN: 1
; COMPUTE_PGM_RSRC2:TGID_Y_EN: 0
; COMPUTE_PGM_RSRC2:TGID_Z_EN: 0
; COMPUTE_PGM_RSRC2:TIDIG_COMP_CNT: 0
; COMPUTE_PGM_RSRC3_GFX90A:ACCUM_OFFSET: 22
; COMPUTE_PGM_RSRC3_GFX90A:TG_SPLIT: 0
	.text
	.p2alignl 6, 3212836864
	.fill 256, 4, 3212836864
	.type	__hip_cuid_81426bc4bd937feb,@object ; @__hip_cuid_81426bc4bd937feb
	.section	.bss,"aw",@nobits
	.globl	__hip_cuid_81426bc4bd937feb
__hip_cuid_81426bc4bd937feb:
	.byte	0                               ; 0x0
	.size	__hip_cuid_81426bc4bd937feb, 1

	.ident	"AMD clang version 19.0.0git (https://github.com/RadeonOpenCompute/llvm-project roc-6.4.0 25133 c7fe45cf4b819c5991fe208aaa96edf142730f1d)"
	.section	".note.GNU-stack","",@progbits
	.addrsig
	.addrsig_sym __hip_cuid_81426bc4bd937feb
	.amdgpu_metadata
---
amdhsa.kernels:
  - .agpr_count:     0
    .args:
      - .actual_access:  read_only
        .address_space:  global
        .offset:         0
        .size:           8
        .value_kind:     global_buffer
      - .offset:         8
        .size:           8
        .value_kind:     by_value
      - .actual_access:  read_only
        .address_space:  global
        .offset:         16
        .size:           8
        .value_kind:     global_buffer
      - .actual_access:  read_only
        .address_space:  global
        .offset:         24
        .size:           8
        .value_kind:     global_buffer
      - .offset:         32
        .size:           8
        .value_kind:     by_value
      - .actual_access:  read_only
        .address_space:  global
        .offset:         40
        .size:           8
        .value_kind:     global_buffer
      - .actual_access:  read_only
        .address_space:  global
        .offset:         48
        .size:           8
        .value_kind:     global_buffer
      - .offset:         56
        .size:           4
        .value_kind:     by_value
      - .actual_access:  read_only
        .address_space:  global
        .offset:         64
        .size:           8
        .value_kind:     global_buffer
      - .actual_access:  read_only
        .address_space:  global
        .offset:         72
        .size:           8
        .value_kind:     global_buffer
      - .address_space:  global
        .offset:         80
        .size:           8
        .value_kind:     global_buffer
    .group_segment_fixed_size: 0
    .kernarg_segment_align: 8
    .kernarg_segment_size: 88
    .language:       OpenCL C
    .language_version:
      - 2
      - 0
    .max_flat_workgroup_size: 54
    .name:           fft_rtc_back_len864_factors_3_6_16_3_wgs_54_tpt_54_halfLds_sp_ip_CI_unitstride_sbrr_R2C_dirReg
    .private_segment_fixed_size: 0
    .sgpr_count:     28
    .sgpr_spill_count: 0
    .symbol:         fft_rtc_back_len864_factors_3_6_16_3_wgs_54_tpt_54_halfLds_sp_ip_CI_unitstride_sbrr_R2C_dirReg.kd
    .uniform_work_group_size: 1
    .uses_dynamic_stack: false
    .vgpr_count:     90
    .vgpr_spill_count: 0
    .wavefront_size: 64
amdhsa.target:   amdgcn-amd-amdhsa--gfx950
amdhsa.version:
  - 1
  - 2
...

	.end_amdgpu_metadata
